;; amdgpu-corpus repo=ROCm/rocFFT kind=compiled arch=gfx1030 opt=O3
	.text
	.amdgcn_target "amdgcn-amd-amdhsa--gfx1030"
	.amdhsa_code_object_version 6
	.protected	fft_rtc_fwd_len1734_factors_17_17_6_wgs_102_tpt_102_halfLds_sp_ip_CI_unitstride_sbrr_dirReg ; -- Begin function fft_rtc_fwd_len1734_factors_17_17_6_wgs_102_tpt_102_halfLds_sp_ip_CI_unitstride_sbrr_dirReg
	.globl	fft_rtc_fwd_len1734_factors_17_17_6_wgs_102_tpt_102_halfLds_sp_ip_CI_unitstride_sbrr_dirReg
	.p2align	8
	.type	fft_rtc_fwd_len1734_factors_17_17_6_wgs_102_tpt_102_halfLds_sp_ip_CI_unitstride_sbrr_dirReg,@function
fft_rtc_fwd_len1734_factors_17_17_6_wgs_102_tpt_102_halfLds_sp_ip_CI_unitstride_sbrr_dirReg: ; @fft_rtc_fwd_len1734_factors_17_17_6_wgs_102_tpt_102_halfLds_sp_ip_CI_unitstride_sbrr_dirReg
; %bb.0:
	s_clause 0x2
	s_load_dwordx4 s[8:11], s[4:5], 0x0
	s_load_dwordx2 s[2:3], s[4:5], 0x50
	s_load_dwordx2 s[12:13], s[4:5], 0x18
	v_mul_u32_u24_e32 v1, 0x283, v0
	v_mov_b32_e32 v3, 0
	v_add_nc_u32_sdwa v5, s6, v1 dst_sel:DWORD dst_unused:UNUSED_PAD src0_sel:DWORD src1_sel:WORD_1
	v_mov_b32_e32 v1, 0
	v_mov_b32_e32 v6, v3
	v_mov_b32_e32 v2, 0
	s_waitcnt lgkmcnt(0)
	v_cmp_lt_u64_e64 s0, s[10:11], 2
	s_and_b32 vcc_lo, exec_lo, s0
	s_cbranch_vccnz .LBB0_8
; %bb.1:
	s_load_dwordx2 s[0:1], s[4:5], 0x10
	v_mov_b32_e32 v1, 0
	s_add_u32 s6, s12, 8
	v_mov_b32_e32 v2, 0
	s_addc_u32 s7, s13, 0
	s_mov_b64 s[16:17], 1
	s_waitcnt lgkmcnt(0)
	s_add_u32 s14, s0, 8
	s_addc_u32 s15, s1, 0
.LBB0_2:                                ; =>This Inner Loop Header: Depth=1
	s_load_dwordx2 s[18:19], s[14:15], 0x0
                                        ; implicit-def: $vgpr7_vgpr8
	s_mov_b32 s0, exec_lo
	s_waitcnt lgkmcnt(0)
	v_or_b32_e32 v4, s19, v6
	v_cmpx_ne_u64_e32 0, v[3:4]
	s_xor_b32 s1, exec_lo, s0
	s_cbranch_execz .LBB0_4
; %bb.3:                                ;   in Loop: Header=BB0_2 Depth=1
	v_cvt_f32_u32_e32 v4, s18
	v_cvt_f32_u32_e32 v7, s19
	s_sub_u32 s0, 0, s18
	s_subb_u32 s20, 0, s19
	v_fmac_f32_e32 v4, 0x4f800000, v7
	v_rcp_f32_e32 v4, v4
	v_mul_f32_e32 v4, 0x5f7ffffc, v4
	v_mul_f32_e32 v7, 0x2f800000, v4
	v_trunc_f32_e32 v7, v7
	v_fmac_f32_e32 v4, 0xcf800000, v7
	v_cvt_u32_f32_e32 v7, v7
	v_cvt_u32_f32_e32 v4, v4
	v_mul_lo_u32 v8, s0, v7
	v_mul_hi_u32 v9, s0, v4
	v_mul_lo_u32 v10, s20, v4
	v_add_nc_u32_e32 v8, v9, v8
	v_mul_lo_u32 v9, s0, v4
	v_add_nc_u32_e32 v8, v8, v10
	v_mul_hi_u32 v10, v4, v9
	v_mul_lo_u32 v11, v4, v8
	v_mul_hi_u32 v12, v4, v8
	v_mul_hi_u32 v13, v7, v9
	v_mul_lo_u32 v9, v7, v9
	v_mul_hi_u32 v14, v7, v8
	v_mul_lo_u32 v8, v7, v8
	v_add_co_u32 v10, vcc_lo, v10, v11
	v_add_co_ci_u32_e32 v11, vcc_lo, 0, v12, vcc_lo
	v_add_co_u32 v9, vcc_lo, v10, v9
	v_add_co_ci_u32_e32 v9, vcc_lo, v11, v13, vcc_lo
	v_add_co_ci_u32_e32 v10, vcc_lo, 0, v14, vcc_lo
	v_add_co_u32 v8, vcc_lo, v9, v8
	v_add_co_ci_u32_e32 v9, vcc_lo, 0, v10, vcc_lo
	v_add_co_u32 v4, vcc_lo, v4, v8
	v_add_co_ci_u32_e32 v7, vcc_lo, v7, v9, vcc_lo
	v_mul_hi_u32 v8, s0, v4
	v_mul_lo_u32 v10, s20, v4
	v_mul_lo_u32 v9, s0, v7
	v_add_nc_u32_e32 v8, v8, v9
	v_mul_lo_u32 v9, s0, v4
	v_add_nc_u32_e32 v8, v8, v10
	v_mul_hi_u32 v10, v4, v9
	v_mul_lo_u32 v11, v4, v8
	v_mul_hi_u32 v12, v4, v8
	v_mul_hi_u32 v13, v7, v9
	v_mul_lo_u32 v9, v7, v9
	v_mul_hi_u32 v14, v7, v8
	v_mul_lo_u32 v8, v7, v8
	v_add_co_u32 v10, vcc_lo, v10, v11
	v_add_co_ci_u32_e32 v11, vcc_lo, 0, v12, vcc_lo
	v_add_co_u32 v9, vcc_lo, v10, v9
	v_add_co_ci_u32_e32 v9, vcc_lo, v11, v13, vcc_lo
	v_add_co_ci_u32_e32 v10, vcc_lo, 0, v14, vcc_lo
	v_add_co_u32 v8, vcc_lo, v9, v8
	v_add_co_ci_u32_e32 v9, vcc_lo, 0, v10, vcc_lo
	v_add_co_u32 v4, vcc_lo, v4, v8
	v_add_co_ci_u32_e32 v11, vcc_lo, v7, v9, vcc_lo
	v_mul_hi_u32 v13, v5, v4
	v_mad_u64_u32 v[9:10], null, v6, v4, 0
	v_mad_u64_u32 v[7:8], null, v5, v11, 0
	;; [unrolled: 1-line block ×3, first 2 shown]
	v_add_co_u32 v4, vcc_lo, v13, v7
	v_add_co_ci_u32_e32 v7, vcc_lo, 0, v8, vcc_lo
	v_add_co_u32 v4, vcc_lo, v4, v9
	v_add_co_ci_u32_e32 v4, vcc_lo, v7, v10, vcc_lo
	v_add_co_ci_u32_e32 v7, vcc_lo, 0, v12, vcc_lo
	v_add_co_u32 v4, vcc_lo, v4, v11
	v_add_co_ci_u32_e32 v9, vcc_lo, 0, v7, vcc_lo
	v_mul_lo_u32 v10, s19, v4
	v_mad_u64_u32 v[7:8], null, s18, v4, 0
	v_mul_lo_u32 v11, s18, v9
	v_sub_co_u32 v7, vcc_lo, v5, v7
	v_add3_u32 v8, v8, v11, v10
	v_sub_nc_u32_e32 v10, v6, v8
	v_subrev_co_ci_u32_e64 v10, s0, s19, v10, vcc_lo
	v_add_co_u32 v11, s0, v4, 2
	v_add_co_ci_u32_e64 v12, s0, 0, v9, s0
	v_sub_co_u32 v13, s0, v7, s18
	v_sub_co_ci_u32_e32 v8, vcc_lo, v6, v8, vcc_lo
	v_subrev_co_ci_u32_e64 v10, s0, 0, v10, s0
	v_cmp_le_u32_e32 vcc_lo, s18, v13
	v_cmp_eq_u32_e64 s0, s19, v8
	v_cndmask_b32_e64 v13, 0, -1, vcc_lo
	v_cmp_le_u32_e32 vcc_lo, s19, v10
	v_cndmask_b32_e64 v14, 0, -1, vcc_lo
	v_cmp_le_u32_e32 vcc_lo, s18, v7
	;; [unrolled: 2-line block ×3, first 2 shown]
	v_cndmask_b32_e64 v15, 0, -1, vcc_lo
	v_cmp_eq_u32_e32 vcc_lo, s19, v10
	v_cndmask_b32_e64 v7, v15, v7, s0
	v_cndmask_b32_e32 v10, v14, v13, vcc_lo
	v_add_co_u32 v13, vcc_lo, v4, 1
	v_add_co_ci_u32_e32 v14, vcc_lo, 0, v9, vcc_lo
	v_cmp_ne_u32_e32 vcc_lo, 0, v10
	v_cndmask_b32_e32 v8, v14, v12, vcc_lo
	v_cndmask_b32_e32 v10, v13, v11, vcc_lo
	v_cmp_ne_u32_e32 vcc_lo, 0, v7
	v_cndmask_b32_e32 v8, v9, v8, vcc_lo
	v_cndmask_b32_e32 v7, v4, v10, vcc_lo
.LBB0_4:                                ;   in Loop: Header=BB0_2 Depth=1
	s_andn2_saveexec_b32 s0, s1
	s_cbranch_execz .LBB0_6
; %bb.5:                                ;   in Loop: Header=BB0_2 Depth=1
	v_cvt_f32_u32_e32 v4, s18
	s_sub_i32 s1, 0, s18
	v_rcp_iflag_f32_e32 v4, v4
	v_mul_f32_e32 v4, 0x4f7ffffe, v4
	v_cvt_u32_f32_e32 v4, v4
	v_mul_lo_u32 v7, s1, v4
	v_mul_hi_u32 v7, v4, v7
	v_add_nc_u32_e32 v4, v4, v7
	v_mul_hi_u32 v4, v5, v4
	v_mul_lo_u32 v7, v4, s18
	v_add_nc_u32_e32 v8, 1, v4
	v_sub_nc_u32_e32 v7, v5, v7
	v_subrev_nc_u32_e32 v9, s18, v7
	v_cmp_le_u32_e32 vcc_lo, s18, v7
	v_cndmask_b32_e32 v7, v7, v9, vcc_lo
	v_cndmask_b32_e32 v4, v4, v8, vcc_lo
	v_cmp_le_u32_e32 vcc_lo, s18, v7
	v_add_nc_u32_e32 v8, 1, v4
	v_cndmask_b32_e32 v7, v4, v8, vcc_lo
	v_mov_b32_e32 v8, v3
.LBB0_6:                                ;   in Loop: Header=BB0_2 Depth=1
	s_or_b32 exec_lo, exec_lo, s0
	s_load_dwordx2 s[0:1], s[6:7], 0x0
	v_mul_lo_u32 v4, v8, s18
	v_mul_lo_u32 v11, v7, s19
	v_mad_u64_u32 v[9:10], null, v7, s18, 0
	s_add_u32 s16, s16, 1
	s_addc_u32 s17, s17, 0
	s_add_u32 s6, s6, 8
	s_addc_u32 s7, s7, 0
	;; [unrolled: 2-line block ×3, first 2 shown]
	v_add3_u32 v4, v10, v11, v4
	v_sub_co_u32 v5, vcc_lo, v5, v9
	v_sub_co_ci_u32_e32 v4, vcc_lo, v6, v4, vcc_lo
	s_waitcnt lgkmcnt(0)
	v_mul_lo_u32 v6, s1, v5
	v_mul_lo_u32 v4, s0, v4
	v_mad_u64_u32 v[1:2], null, s0, v5, v[1:2]
	v_cmp_ge_u64_e64 s0, s[16:17], s[10:11]
	s_and_b32 vcc_lo, exec_lo, s0
	v_add3_u32 v2, v6, v2, v4
	s_cbranch_vccnz .LBB0_9
; %bb.7:                                ;   in Loop: Header=BB0_2 Depth=1
	v_mov_b32_e32 v5, v7
	v_mov_b32_e32 v6, v8
	s_branch .LBB0_2
.LBB0_8:
	v_mov_b32_e32 v8, v6
	v_mov_b32_e32 v7, v5
.LBB0_9:
	s_lshl_b64 s[0:1], s[10:11], 3
	v_mul_hi_u32 v5, 0x2828283, v0
	s_add_u32 s0, s12, s0
	s_addc_u32 s1, s13, s1
	v_mov_b32_e32 v20, 0
	s_load_dwordx2 s[0:1], s[0:1], 0x0
	s_load_dwordx2 s[4:5], s[4:5], 0x20
	v_mov_b32_e32 v21, 0
                                        ; implicit-def: $vgpr37
                                        ; implicit-def: $vgpr35
                                        ; implicit-def: $vgpr33
                                        ; implicit-def: $vgpr29
                                        ; implicit-def: $vgpr17
                                        ; implicit-def: $vgpr13
                                        ; implicit-def: $vgpr9
                                        ; implicit-def: $vgpr23
                                        ; implicit-def: $vgpr25
                                        ; implicit-def: $vgpr27
                                        ; implicit-def: $vgpr31
                                        ; implicit-def: $vgpr19
                                        ; implicit-def: $vgpr15
                                        ; implicit-def: $vgpr11
	s_waitcnt lgkmcnt(0)
	v_mul_lo_u32 v3, s0, v8
	v_mul_lo_u32 v4, s1, v7
	v_mad_u64_u32 v[1:2], null, s0, v7, v[1:2]
	v_cmp_gt_u64_e32 vcc_lo, s[4:5], v[7:8]
                                        ; implicit-def: $vgpr7
	v_add3_u32 v2, v4, v2, v3
	v_mul_u32_u24_e32 v4, 0x66, v5
                                        ; implicit-def: $vgpr5
	v_lshlrev_b64 v[2:3], 3, v[1:2]
	v_sub_nc_u32_e32 v0, v0, v4
	s_and_saveexec_b32 s1, vcc_lo
	s_cbranch_execz .LBB0_11
; %bb.10:
	v_mov_b32_e32 v1, 0
	v_lshlrev_b64 v[4:5], 3, v[0:1]
	v_add_co_u32 v1, s0, s2, v2
	v_add_co_ci_u32_e64 v6, s0, s3, v3, s0
	v_add_co_u32 v18, s0, v1, v4
	v_add_co_ci_u32_e64 v19, s0, v6, v5, s0
	;; [unrolled: 2-line block ×7, first 2 shown]
	s_clause 0xb
	global_load_dwordx2 v[20:21], v[18:19], off
	global_load_dwordx2 v[36:37], v[18:19], off offset:816
	global_load_dwordx2 v[34:35], v[18:19], off offset:1632
	;; [unrolled: 1-line block ×11, first 2 shown]
	v_add_co_u32 v38, s0, 0x3000, v18
	v_add_co_ci_u32_e64 v39, s0, 0, v19, s0
	s_clause 0x4
	global_load_dwordx2 v[18:19], v[22:23], off offset:1600
	global_load_dwordx2 v[30:31], v[24:25], off offset:368
	;; [unrolled: 1-line block ×5, first 2 shown]
.LBB0_11:
	s_or_b32 exec_lo, exec_lo, s1
	s_waitcnt vmcnt(15)
	v_add_f32_e32 v1, v36, v20
	v_add_f32_e32 v38, v37, v21
	s_waitcnt vmcnt(0)
	v_add_f32_e32 v39, v36, v22
	v_sub_f32_e32 v36, v36, v22
	v_add_f32_e32 v40, v37, v23
	v_add_f32_e32 v1, v34, v1
	;; [unrolled: 1-line block ×4, first 2 shown]
	v_sub_f32_e32 v46, v33, v27
	v_mul_f32_e32 v50, 0xbf2c7751, v36
	v_add_f32_e32 v1, v32, v1
	v_add_f32_e32 v38, v33, v38
	;; [unrolled: 1-line block ×3, first 2 shown]
	v_mul_f32_e32 v52, 0xbf65296c, v36
	v_sub_f32_e32 v37, v37, v23
	v_add_f32_e32 v1, v28, v1
	v_add_f32_e32 v38, v29, v38
	v_sub_f32_e32 v28, v28, v30
	v_add_f32_e32 v43, v32, v26
	v_sub_f32_e32 v45, v32, v26
	v_add_f32_e32 v1, v16, v1
	v_add_f32_e32 v38, v17, v38
	;; [unrolled: 1-line block ×3, first 2 shown]
	v_sub_f32_e32 v29, v29, v31
	v_mul_f32_e32 v47, 0x3f6eb680, v39
	v_add_f32_e32 v1, v12, v1
	v_add_f32_e32 v38, v13, v38
	v_mul_f32_e32 v48, 0xbeb8f4ab, v36
	v_mul_f32_e32 v49, 0x3f3d2fb0, v39
	v_fmamk_f32 v61, v40, 0x3f3d2fb0, v50
	v_add_f32_e32 v1, v8, v1
	v_add_f32_e32 v38, v9, v38
	v_mul_f32_e32 v62, 0xbf4c4adb, v36
	v_mul_f32_e32 v64, 0xbf06c442, v36
	v_add_f32_e32 v41, v34, v24
	v_add_f32_e32 v1, v4, v1
	;; [unrolled: 1-line block ×3, first 2 shown]
	v_sub_f32_e32 v34, v34, v24
	v_mul_f32_e32 v51, 0x3ee437d1, v39
	v_mul_f32_e32 v53, 0x3dbcf732, v39
	v_add_f32_e32 v1, v6, v1
	v_add_f32_e32 v38, v7, v38
	v_mul_f32_e32 v54, 0xbf7ee86f, v36
	v_mul_f32_e32 v55, 0xbe8c1d8e, v39
	;; [unrolled: 1-line block ×3, first 2 shown]
	v_add_f32_e32 v1, v10, v1
	v_add_f32_e32 v38, v11, v38
	v_mul_f32_e32 v57, 0xbf59a7d5, v39
	v_mul_f32_e32 v39, 0xbf7ba420, v39
	v_fmamk_f32 v58, v37, 0x3eb8f4ab, v47
	v_add_f32_e32 v1, v14, v1
	v_add_f32_e32 v38, v15, v38
	v_fmamk_f32 v59, v40, 0x3f6eb680, v48
	v_fmamk_f32 v60, v37, 0x3f2c7751, v49
	;; [unrolled: 1-line block ×3, first 2 shown]
	v_add_f32_e32 v1, v18, v1
	v_add_f32_e32 v38, v19, v38
	v_fmamk_f32 v66, v40, 0xbf59a7d5, v64
	v_add_f32_e32 v42, v35, v25
	v_sub_f32_e32 v35, v35, v25
	v_add_f32_e32 v1, v30, v1
	v_add_f32_e32 v30, v31, v38
	v_fma_f32 v31, 0x3f3d2fb0, v40, -v50
	v_fmamk_f32 v50, v40, 0x3ee437d1, v52
	v_fmac_f32_e32 v47, 0xbeb8f4ab, v37
	v_add_f32_e32 v1, v26, v1
	v_add_f32_e32 v26, v27, v30
	v_fma_f32 v27, 0x3ee437d1, v40, -v52
	v_mul_f32_e32 v52, 0xbf763a35, v36
	v_mul_f32_e32 v36, 0xbe3c28d5, v36
	v_add_f32_e32 v1, v24, v1
	v_add_f32_e32 v24, v25, v26
	v_fma_f32 v48, 0x3f6eb680, v40, -v48
	v_fmamk_f32 v63, v40, 0xbe8c1d8e, v52
	v_fmac_f32_e32 v49, 0xbf2c7751, v37
	v_fmamk_f32 v38, v37, 0x3f65296c, v51
	v_fmac_f32_e32 v51, 0xbf65296c, v37
	;; [unrolled: 2-line block ×4, first 2 shown]
	v_add_f32_e32 v1, v22, v1
	v_add_f32_e32 v22, v23, v24
	v_fmamk_f32 v23, v37, 0x3f4c4adb, v56
	v_fmac_f32_e32 v56, 0xbf4c4adb, v37
	v_fmamk_f32 v24, v37, 0x3f06c442, v57
	v_fmac_f32_e32 v57, 0xbf06c442, v37
	;; [unrolled: 2-line block ×3, first 2 shown]
	v_fmamk_f32 v37, v40, 0x3dbcf732, v54
	v_fma_f32 v54, 0x3dbcf732, v40, -v54
	v_fma_f32 v52, 0xbe8c1d8e, v40, -v52
	;; [unrolled: 1-line block ×4, first 2 shown]
	v_fmamk_f32 v67, v40, 0xbf7ba420, v36
	v_fma_f32 v36, 0xbf7ba420, v40, -v36
	v_add_f32_e32 v40, v58, v20
	v_add_f32_e32 v58, v59, v21
	;; [unrolled: 1-line block ×7, first 2 shown]
	v_mul_f32_e32 v66, 0x3f3d2fb0, v41
	v_mul_f32_e32 v68, 0xbf2c7751, v34
	v_add_f32_e32 v47, v47, v20
	v_add_f32_e32 v48, v48, v21
	;; [unrolled: 1-line block ×23, first 2 shown]
	v_fmamk_f32 v69, v35, 0x3f2c7751, v66
	v_add_f32_e32 v20, v39, v20
	v_add_f32_e32 v21, v36, v21
	v_fmamk_f32 v36, v42, 0x3f3d2fb0, v68
	v_mul_f32_e32 v39, 0x3dbcf732, v41
	v_fmac_f32_e32 v66, 0xbf2c7751, v35
	v_add_f32_e32 v40, v69, v40
	v_fma_f32 v68, 0x3f3d2fb0, v42, -v68
	v_add_f32_e32 v36, v36, v58
	v_fmamk_f32 v58, v35, 0x3f7ee86f, v39
	v_mul_f32_e32 v69, 0xbf7ee86f, v34
	v_add_f32_e32 v47, v66, v47
	v_mul_f32_e32 v66, 0xbf1a4643, v41
	v_add_f32_e32 v48, v68, v48
	v_add_f32_e32 v58, v58, v59
	v_fmamk_f32 v59, v42, 0x3dbcf732, v69
	v_fmac_f32_e32 v39, 0xbf7ee86f, v35
	v_fma_f32 v68, 0x3dbcf732, v42, -v69
	v_fmamk_f32 v69, v35, 0x3f4c4adb, v66
	v_mul_f32_e32 v70, 0xbf4c4adb, v34
	v_add_f32_e32 v59, v59, v60
	v_add_f32_e32 v39, v39, v49
	v_add_f32_e32 v31, v68, v31
	v_add_f32_e32 v38, v69, v38
	v_fmamk_f32 v49, v42, 0xbf1a4643, v70
	v_mul_f32_e32 v60, 0xbf7ba420, v41
	v_fmac_f32_e32 v66, 0xbf4c4adb, v35
	v_fma_f32 v68, 0xbf1a4643, v42, -v70
	v_mul_f32_e32 v69, 0xbe3c28d5, v34
	v_add_f32_e32 v49, v49, v50
	v_fmamk_f32 v50, v35, 0x3e3c28d5, v60
	v_add_f32_e32 v51, v66, v51
	v_add_f32_e32 v27, v68, v27
	v_fmamk_f32 v66, v42, 0xbf7ba420, v69
	v_mul_f32_e32 v68, 0xbf59a7d5, v41
	v_add_f32_e32 v30, v50, v30
	v_fmac_f32_e32 v60, 0xbe3c28d5, v35
	v_fma_f32 v50, 0xbf7ba420, v42, -v69
	v_add_f32_e32 v37, v66, v37
	v_fmamk_f32 v66, v35, 0xbf06c442, v68
	v_mul_f32_e32 v69, 0x3f06c442, v34
	v_add_f32_e32 v53, v60, v53
	v_add_f32_e32 v50, v50, v54
	v_mul_f32_e32 v54, 0xbe8c1d8e, v41
	v_add_f32_e32 v25, v66, v25
	v_fmamk_f32 v60, v42, 0xbf59a7d5, v69
	v_fmac_f32_e32 v68, 0x3f06c442, v35
	v_fma_f32 v66, 0xbf59a7d5, v42, -v69
	v_mul_f32_e32 v70, 0x3f763a35, v34
	v_fmamk_f32 v69, v35, 0xbf763a35, v54
	v_add_f32_e32 v60, v60, v61
	v_add_f32_e32 v55, v68, v55
	;; [unrolled: 1-line block ×3, first 2 shown]
	v_fmamk_f32 v61, v42, 0xbe8c1d8e, v70
	v_fmac_f32_e32 v54, 0x3f763a35, v35
	v_mul_f32_e32 v66, 0x3ee437d1, v41
	v_mul_f32_e32 v68, 0x3f65296c, v34
	;; [unrolled: 1-line block ×3, first 2 shown]
	v_add_f32_e32 v61, v61, v63
	v_add_f32_e32 v54, v54, v56
	v_fmamk_f32 v56, v35, 0xbf65296c, v66
	v_fmamk_f32 v63, v42, 0x3ee437d1, v68
	v_fmac_f32_e32 v66, 0x3f65296c, v35
	v_mul_f32_e32 v34, 0x3eb8f4ab, v34
	v_add_f32_e32 v23, v69, v23
	v_add_f32_e32 v24, v56, v24
	;; [unrolled: 1-line block ×4, first 2 shown]
	v_fmamk_f32 v63, v35, 0xbeb8f4ab, v41
	v_fma_f32 v65, 0x3ee437d1, v42, -v68
	v_fmac_f32_e32 v41, 0x3eb8f4ab, v35
	v_fmamk_f32 v35, v42, 0x3f6eb680, v34
	v_mul_f32_e32 v66, 0x3ee437d1, v43
	v_fma_f32 v34, 0x3f6eb680, v42, -v34
	v_fma_f32 v69, 0xbe8c1d8e, v42, -v70
	v_add_f32_e32 v42, v65, v64
	v_add_f32_e32 v26, v63, v26
	v_fmamk_f32 v63, v46, 0x3f65296c, v66
	v_mul_f32_e32 v64, 0xbf65296c, v45
	v_add_f32_e32 v21, v34, v21
	v_mul_f32_e32 v34, 0xbf1a4643, v43
	v_add_f32_e32 v20, v41, v20
	v_add_f32_e32 v40, v63, v40
	v_fmamk_f32 v41, v44, 0x3ee437d1, v64
	v_fmac_f32_e32 v66, 0xbf65296c, v46
	v_fma_f32 v63, 0x3ee437d1, v44, -v64
	v_fmamk_f32 v64, v46, 0x3f4c4adb, v34
	v_mul_f32_e32 v65, 0xbf4c4adb, v45
	v_add_f32_e32 v36, v41, v36
	v_add_f32_e32 v41, v66, v47
	;; [unrolled: 1-line block ×4, first 2 shown]
	v_fmamk_f32 v58, v44, 0xbf1a4643, v65
	v_mul_f32_e32 v63, 0xbf7ba420, v43
	v_fmac_f32_e32 v34, 0xbf4c4adb, v46
	v_fma_f32 v64, 0xbf1a4643, v44, -v65
	v_mul_f32_e32 v65, 0x3e3c28d5, v45
	v_add_f32_e32 v58, v58, v59
	v_fmamk_f32 v59, v46, 0xbe3c28d5, v63
	v_add_f32_e32 v34, v34, v39
	v_add_f32_e32 v31, v64, v31
	v_fmamk_f32 v39, v44, 0xbf7ba420, v65
	v_mul_f32_e32 v64, 0xbe8c1d8e, v43
	v_add_f32_e32 v38, v59, v38
	v_fma_f32 v59, 0xbf7ba420, v44, -v65
	v_fmac_f32_e32 v63, 0x3e3c28d5, v46
	v_add_f32_e32 v39, v39, v49
	v_fmamk_f32 v49, v46, 0xbf763a35, v64
	v_mul_f32_e32 v65, 0x3f763a35, v45
	v_add_f32_e32 v27, v59, v27
	v_mul_f32_e32 v59, 0x3f3d2fb0, v43
	v_add_f32_e32 v51, v63, v51
	v_add_f32_e32 v30, v49, v30
	v_fmamk_f32 v49, v44, 0xbe8c1d8e, v65
	v_fmac_f32_e32 v64, 0x3f763a35, v46
	v_fma_f32 v63, 0xbe8c1d8e, v44, -v65
	v_fmamk_f32 v65, v46, 0xbf2c7751, v59
	v_mul_f32_e32 v66, 0x3f2c7751, v45
	v_add_f32_e32 v37, v49, v37
	v_add_f32_e32 v49, v64, v53
	;; [unrolled: 1-line block ×4, first 2 shown]
	v_fmamk_f32 v53, v44, 0x3f3d2fb0, v66
	v_mul_f32_e32 v63, 0x3f6eb680, v43
	v_fmac_f32_e32 v59, 0x3f2c7751, v46
	v_fma_f32 v64, 0x3f3d2fb0, v44, -v66
	v_mul_f32_e32 v65, 0xbeb8f4ab, v45
	v_add_f32_e32 v53, v53, v60
	v_fmamk_f32 v60, v46, 0x3eb8f4ab, v63
	v_add_f32_e32 v55, v59, v55
	v_add_f32_e32 v52, v64, v52
	v_fmamk_f32 v59, v44, 0x3f6eb680, v65
	v_mul_f32_e32 v64, 0x3dbcf732, v43
	v_add_f32_e32 v62, v69, v62
	v_add_f32_e32 v23, v60, v23
	v_fma_f32 v60, 0x3f6eb680, v44, -v65
	v_add_f32_e32 v59, v59, v61
	v_fmamk_f32 v61, v46, 0x3f7ee86f, v64
	v_mul_f32_e32 v65, 0xbf7ee86f, v45
	v_mul_f32_e32 v45, 0xbf06c442, v45
	v_add_f32_e32 v60, v60, v62
	v_fmac_f32_e32 v63, 0xbeb8f4ab, v46
	v_add_f32_e32 v24, v61, v24
	v_fmamk_f32 v61, v44, 0x3dbcf732, v65
	v_fma_f32 v62, 0x3dbcf732, v44, -v65
	v_mul_f32_e32 v43, 0xbf59a7d5, v43
	v_add_f32_e32 v35, v35, v67
	v_add_f32_e32 v54, v63, v54
	;; [unrolled: 1-line block ×4, first 2 shown]
	v_fmamk_f32 v61, v44, 0xbf59a7d5, v45
	v_mul_f32_e32 v62, 0x3dbcf732, v33
	v_fma_f32 v44, 0xbf59a7d5, v44, -v45
	v_fmac_f32_e32 v64, 0xbf7ee86f, v46
	v_fmamk_f32 v63, v46, 0x3f06c442, v43
	v_fmac_f32_e32 v43, 0xbf06c442, v46
	v_mul_f32_e32 v45, 0xbf7ee86f, v28
	v_fmamk_f32 v46, v29, 0x3f7ee86f, v62
	v_add_f32_e32 v21, v44, v21
	v_mul_f32_e32 v44, 0xbf7ba420, v33
	v_add_f32_e32 v35, v61, v35
	v_add_f32_e32 v20, v43, v20
	v_fmamk_f32 v43, v32, 0x3dbcf732, v45
	v_add_f32_e32 v40, v46, v40
	v_fma_f32 v45, 0x3dbcf732, v32, -v45
	v_mul_f32_e32 v46, 0xbe3c28d5, v28
	v_fmamk_f32 v61, v29, 0x3e3c28d5, v44
	v_add_f32_e32 v36, v43, v36
	v_fmac_f32_e32 v44, 0xbe3c28d5, v29
	v_add_f32_e32 v43, v45, v47
	v_fmamk_f32 v45, v32, 0xbf7ba420, v46
	v_add_f32_e32 v47, v61, v48
	v_mul_f32_e32 v48, 0xbe8c1d8e, v33
	v_fma_f32 v46, 0xbf7ba420, v32, -v46
	v_mul_f32_e32 v61, 0x3f763a35, v28
	v_add_f32_e32 v45, v45, v58
	v_fmac_f32_e32 v62, 0xbf7ee86f, v29
	v_fmamk_f32 v58, v29, 0xbf763a35, v48
	v_add_f32_e32 v34, v44, v34
	v_add_f32_e32 v31, v46, v31
	v_fmamk_f32 v44, v32, 0xbe8c1d8e, v61
	v_mul_f32_e32 v46, 0x3f6eb680, v33
	v_add_f32_e32 v38, v58, v38
	v_fmac_f32_e32 v48, 0x3f763a35, v29
	v_fma_f32 v58, 0xbe8c1d8e, v32, -v61
	v_mul_f32_e32 v61, 0x3eb8f4ab, v28
	v_add_f32_e32 v41, v62, v41
	v_fmamk_f32 v62, v29, 0xbeb8f4ab, v46
	v_add_f32_e32 v39, v44, v39
	v_add_f32_e32 v44, v48, v51
	;; [unrolled: 1-line block ×3, first 2 shown]
	v_fmamk_f32 v48, v32, 0x3f6eb680, v61
	v_fmac_f32_e32 v46, 0x3eb8f4ab, v29
	v_mul_f32_e32 v51, 0x3ee437d1, v33
	v_fma_f32 v58, 0x3f6eb680, v32, -v61
	v_mul_f32_e32 v61, 0xbf65296c, v28
	v_add_f32_e32 v37, v48, v37
	v_add_f32_e32 v46, v46, v49
	v_fmamk_f32 v48, v29, 0x3f65296c, v51
	v_add_f32_e32 v49, v58, v50
	v_mul_f32_e32 v58, 0xbf59a7d5, v33
	v_fmac_f32_e32 v51, 0xbf65296c, v29
	v_add_f32_e32 v30, v62, v30
	v_fmamk_f32 v50, v32, 0x3ee437d1, v61
	v_add_f32_e32 v25, v48, v25
	v_fma_f32 v48, 0x3ee437d1, v32, -v61
	v_mul_f32_e32 v61, 0xbf06c442, v28
	v_fmamk_f32 v62, v29, 0x3f06c442, v58
	v_add_f32_e32 v51, v51, v55
	v_fmac_f32_e32 v58, 0xbf06c442, v29
	v_mul_f32_e32 v55, 0xbf1a4643, v33
	v_add_f32_e32 v57, v64, v57
	v_add_f32_e32 v48, v48, v52
	v_fmamk_f32 v52, v32, 0xbf59a7d5, v61
	v_add_f32_e32 v54, v58, v54
	v_fmamk_f32 v58, v29, 0xbf4c4adb, v55
	v_mul_f32_e32 v33, 0x3f3d2fb0, v33
	v_fmac_f32_e32 v55, 0x3f4c4adb, v29
	v_add_f32_e32 v26, v63, v26
	v_add_f32_e32 v50, v50, v53
	v_fma_f32 v53, 0xbf59a7d5, v32, -v61
	v_add_f32_e32 v52, v52, v59
	v_mul_f32_e32 v59, 0x3f4c4adb, v28
	v_add_f32_e32 v24, v58, v24
	v_fmamk_f32 v58, v29, 0xbf2c7751, v33
	v_add_f32_e32 v55, v55, v57
	v_add_f32_e32 v57, v16, v18
	v_mul_f32_e32 v28, 0x3f2c7751, v28
	v_sub_f32_e32 v16, v16, v18
	v_add_f32_e32 v53, v53, v60
	v_fmamk_f32 v60, v32, 0xbf1a4643, v59
	v_fma_f32 v59, 0xbf1a4643, v32, -v59
	v_add_f32_e32 v26, v58, v26
	v_fmac_f32_e32 v33, 0x3f2c7751, v29
	v_sub_f32_e32 v29, v17, v19
	v_mul_f32_e32 v58, 0xbe8c1d8e, v57
	v_fmamk_f32 v18, v32, 0x3f3d2fb0, v28
	v_fma_f32 v28, 0x3f3d2fb0, v32, -v28
	v_add_f32_e32 v17, v17, v19
	v_mul_f32_e32 v32, 0xbf763a35, v16
	v_fmamk_f32 v19, v29, 0x3f763a35, v58
	v_add_f32_e32 v18, v18, v35
	v_add_f32_e32 v20, v33, v20
	;; [unrolled: 1-line block ×3, first 2 shown]
	v_fmamk_f32 v28, v17, 0xbe8c1d8e, v32
	v_mul_f32_e32 v33, 0xbf59a7d5, v57
	v_fmac_f32_e32 v58, 0xbf763a35, v29
	v_fma_f32 v32, 0xbe8c1d8e, v17, -v32
	v_mul_f32_e32 v35, 0x3f06c442, v16
	v_add_f32_e32 v19, v19, v40
	v_add_f32_e32 v28, v28, v36
	v_fmamk_f32 v36, v29, 0xbf06c442, v33
	v_add_f32_e32 v40, v58, v41
	v_add_f32_e32 v32, v32, v43
	v_fmamk_f32 v41, v17, 0xbf59a7d5, v35
	v_mul_f32_e32 v43, 0x3f3d2fb0, v57
	v_fmac_f32_e32 v33, 0x3f06c442, v29
	v_add_f32_e32 v36, v36, v47
	v_fma_f32 v35, 0xbf59a7d5, v17, -v35
	v_add_f32_e32 v41, v41, v45
	v_fmamk_f32 v45, v29, 0xbf2c7751, v43
	v_mul_f32_e32 v47, 0x3f2c7751, v16
	v_add_f32_e32 v33, v33, v34
	v_mul_f32_e32 v34, 0x3ee437d1, v57
	v_add_f32_e32 v31, v35, v31
	v_add_f32_e32 v35, v45, v38
	v_fmamk_f32 v38, v17, 0x3f3d2fb0, v47
	v_fmac_f32_e32 v43, 0x3f2c7751, v29
	v_fma_f32 v45, 0x3f3d2fb0, v17, -v47
	v_fmamk_f32 v47, v29, 0x3f65296c, v34
	v_mul_f32_e32 v58, 0xbf65296c, v16
	v_add_f32_e32 v38, v38, v39
	v_add_f32_e32 v39, v43, v44
	;; [unrolled: 1-line block ×4, first 2 shown]
	v_fmamk_f32 v43, v17, 0x3ee437d1, v58
	v_mul_f32_e32 v44, 0xbf7ba420, v57
	v_fmac_f32_e32 v34, 0xbf65296c, v29
	v_fma_f32 v45, 0x3ee437d1, v17, -v58
	v_mul_f32_e32 v47, 0xbe3c28d5, v16
	v_add_f32_e32 v37, v43, v37
	v_fmamk_f32 v43, v29, 0x3e3c28d5, v44
	v_add_f32_e32 v34, v34, v46
	v_add_f32_e32 v45, v45, v49
	v_fmamk_f32 v46, v17, 0xbf7ba420, v47
	v_mul_f32_e32 v49, 0x3dbcf732, v57
	v_add_f32_e32 v23, v62, v23
	v_add_f32_e32 v25, v43, v25
	v_fma_f32 v43, 0xbf7ba420, v17, -v47
	v_add_f32_e32 v46, v46, v50
	v_fmamk_f32 v47, v29, 0xbf7ee86f, v49
	v_mul_f32_e32 v50, 0x3f7ee86f, v16
	v_fmac_f32_e32 v44, 0xbe3c28d5, v29
	v_add_f32_e32 v43, v43, v48
	v_mul_f32_e32 v48, 0x3f6eb680, v57
	v_add_f32_e32 v23, v47, v23
	v_fmamk_f32 v47, v17, 0x3dbcf732, v50
	v_fma_f32 v50, 0x3dbcf732, v17, -v50
	v_mul_f32_e32 v58, 0xbeb8f4ab, v16
	v_add_f32_e32 v42, v59, v42
	v_add_f32_e32 v44, v44, v51
	v_fmac_f32_e32 v49, 0x3f7ee86f, v29
	v_fmamk_f32 v51, v29, 0x3eb8f4ab, v48
	v_add_f32_e32 v47, v47, v52
	v_add_f32_e32 v50, v50, v53
	v_mul_f32_e32 v52, 0xbf1a4643, v57
	v_fma_f32 v53, 0x3f6eb680, v17, -v58
	v_add_f32_e32 v56, v60, v56
	v_add_f32_e32 v49, v49, v54
	;; [unrolled: 1-line block ×3, first 2 shown]
	v_fmamk_f32 v51, v17, 0x3f6eb680, v58
	v_mul_f32_e32 v16, 0xbf4c4adb, v16
	v_fmamk_f32 v54, v29, 0x3f4c4adb, v52
	v_add_f32_e32 v42, v53, v42
	v_add_f32_e32 v53, v12, v14
	v_sub_f32_e32 v12, v12, v14
	v_add_f32_e32 v51, v51, v56
	v_fmamk_f32 v56, v17, 0xbf1a4643, v16
	v_add_f32_e32 v26, v54, v26
	v_sub_f32_e32 v14, v13, v15
	v_mul_f32_e32 v54, 0xbf1a4643, v53
	v_fma_f32 v16, 0xbf1a4643, v17, -v16
	v_add_f32_e32 v13, v13, v15
	v_mul_f32_e32 v15, 0xbf4c4adb, v12
	v_fmac_f32_e32 v48, 0xbeb8f4ab, v29
	v_fmac_f32_e32 v52, 0xbf4c4adb, v29
	v_fmamk_f32 v17, v14, 0x3f4c4adb, v54
	v_add_f32_e32 v16, v16, v21
	v_mul_f32_e32 v21, 0xbe8c1d8e, v53
	v_fmamk_f32 v29, v13, 0xbf1a4643, v15
	v_fma_f32 v15, 0xbf1a4643, v13, -v15
	v_add_f32_e32 v17, v17, v19
	v_add_f32_e32 v20, v52, v20
	v_fmamk_f32 v19, v14, 0xbf763a35, v21
	v_add_f32_e32 v28, v29, v28
	v_mul_f32_e32 v29, 0x3f763a35, v12
	v_fmac_f32_e32 v54, 0xbf4c4adb, v14
	v_add_f32_e32 v15, v15, v32
	v_add_f32_e32 v19, v19, v36
	v_mul_f32_e32 v32, 0x3f6eb680, v53
	v_fmamk_f32 v36, v13, 0xbe8c1d8e, v29
	v_fma_f32 v29, 0xbe8c1d8e, v13, -v29
	v_mul_f32_e32 v52, 0xbeb8f4ab, v12
	v_add_f32_e32 v40, v54, v40
	v_fmac_f32_e32 v21, 0x3f763a35, v14
	v_fmamk_f32 v54, v14, 0x3eb8f4ab, v32
	v_add_f32_e32 v29, v29, v31
	v_fmamk_f32 v31, v13, 0x3f6eb680, v52
	v_add_f32_e32 v36, v36, v41
	v_add_f32_e32 v21, v21, v33
	;; [unrolled: 1-line block ×3, first 2 shown]
	v_mul_f32_e32 v35, 0xbf59a7d5, v53
	v_fmac_f32_e32 v32, 0xbeb8f4ab, v14
	v_fma_f32 v41, 0x3f6eb680, v13, -v52
	v_add_f32_e32 v31, v31, v38
	v_mul_f32_e32 v38, 0xbf06c442, v12
	v_fmamk_f32 v52, v14, 0x3f06c442, v35
	v_add_f32_e32 v32, v32, v39
	v_add_f32_e32 v27, v41, v27
	v_mul_f32_e32 v39, 0x3dbcf732, v53
	v_fmamk_f32 v41, v13, 0xbf59a7d5, v38
	v_add_f32_e32 v30, v52, v30
	v_fmac_f32_e32 v35, 0xbf06c442, v14
	v_fma_f32 v38, 0xbf59a7d5, v13, -v38
	v_fmamk_f32 v52, v14, 0xbf7ee86f, v39
	v_add_f32_e32 v37, v41, v37
	v_mul_f32_e32 v41, 0x3f7ee86f, v12
	v_add_f32_e32 v34, v35, v34
	v_add_f32_e32 v35, v38, v45
	;; [unrolled: 1-line block ×3, first 2 shown]
	v_mul_f32_e32 v52, 0xbf2c7751, v12
	v_fmamk_f32 v45, v13, 0x3dbcf732, v41
	v_fma_f32 v41, 0x3dbcf732, v13, -v41
	v_mul_f32_e32 v38, 0x3f3d2fb0, v53
	v_fmac_f32_e32 v39, 0x3f7ee86f, v14
	v_add_f32_e32 v48, v48, v55
	v_add_f32_e32 v45, v45, v46
	;; [unrolled: 1-line block ×3, first 2 shown]
	v_fmamk_f32 v43, v13, 0x3f3d2fb0, v52
	v_fma_f32 v46, 0x3f3d2fb0, v13, -v52
	v_fmamk_f32 v54, v14, 0x3f2c7751, v38
	v_add_f32_e32 v39, v39, v44
	v_mul_f32_e32 v44, 0xbf7ba420, v53
	v_add_f32_e32 v43, v43, v47
	v_mul_f32_e32 v47, 0xbe3c28d5, v12
	v_fmac_f32_e32 v38, 0xbf2c7751, v14
	v_add_f32_e32 v46, v46, v50
	v_fmamk_f32 v52, v14, 0x3e3c28d5, v44
	v_fmac_f32_e32 v44, 0xbe3c28d5, v14
	v_fmamk_f32 v50, v13, 0xbf7ba420, v47
	v_fma_f32 v47, 0xbf7ba420, v13, -v47
	v_add_f32_e32 v38, v38, v49
	v_mul_f32_e32 v49, 0x3ee437d1, v53
	v_mul_f32_e32 v12, 0x3f65296c, v12
	v_add_f32_e32 v18, v56, v18
	v_add_f32_e32 v42, v47, v42
	;; [unrolled: 1-line block ×3, first 2 shown]
	v_sub_f32_e32 v8, v8, v10
	v_add_f32_e32 v24, v52, v24
	v_fmamk_f32 v52, v14, 0xbf65296c, v49
	v_add_f32_e32 v44, v44, v48
	v_fmamk_f32 v48, v13, 0x3ee437d1, v12
	v_fmac_f32_e32 v49, 0x3f65296c, v14
	v_sub_f32_e32 v10, v9, v11
	v_mul_f32_e32 v14, 0xbf59a7d5, v47
	v_fma_f32 v12, 0x3ee437d1, v13, -v12
	v_add_f32_e32 v9, v9, v11
	v_mul_f32_e32 v11, 0xbf06c442, v8
	v_add_f32_e32 v13, v48, v18
	v_fmamk_f32 v18, v10, 0x3f06c442, v14
	v_add_f32_e32 v12, v12, v16
	v_mul_f32_e32 v48, 0x3ee437d1, v47
	v_fmamk_f32 v16, v9, 0xbf59a7d5, v11
	v_fma_f32 v11, 0xbf59a7d5, v9, -v11
	v_add_f32_e32 v17, v18, v17
	v_fmac_f32_e32 v14, 0xbf06c442, v10
	v_fmamk_f32 v18, v10, 0xbf65296c, v48
	v_add_f32_e32 v16, v16, v28
	v_mul_f32_e32 v28, 0x3f65296c, v8
	v_add_f32_e32 v11, v11, v15
	v_mul_f32_e32 v15, 0x3dbcf732, v47
	v_add_f32_e32 v20, v49, v20
	v_add_f32_e32 v14, v14, v40
	;; [unrolled: 1-line block ×3, first 2 shown]
	v_fmamk_f32 v19, v9, 0x3ee437d1, v28
	v_fmac_f32_e32 v48, 0x3f65296c, v10
	v_fma_f32 v28, 0x3ee437d1, v9, -v28
	v_fmamk_f32 v40, v10, 0x3f7ee86f, v15
	v_mul_f32_e32 v49, 0xbf7ee86f, v8
	v_add_f32_e32 v19, v19, v36
	v_add_f32_e32 v21, v48, v21
	;; [unrolled: 1-line block ×4, first 2 shown]
	v_fmamk_f32 v33, v9, 0x3dbcf732, v49
	v_mul_f32_e32 v36, 0xbf1a4643, v47
	v_fmac_f32_e32 v15, 0xbf7ee86f, v10
	v_fma_f32 v40, 0x3dbcf732, v9, -v49
	v_mul_f32_e32 v48, 0x3f4c4adb, v8
	v_add_f32_e32 v31, v33, v31
	v_fmamk_f32 v33, v10, 0xbf4c4adb, v36
	v_add_f32_e32 v15, v15, v32
	v_add_f32_e32 v27, v40, v27
	v_fmamk_f32 v32, v9, 0xbf1a4643, v48
	v_mul_f32_e32 v40, 0x3f6eb680, v47
	v_add_f32_e32 v30, v33, v30
	v_fma_f32 v33, 0xbf1a4643, v9, -v48
	v_mul_f32_e32 v48, 0xbeb8f4ab, v8
	v_add_f32_e32 v32, v32, v37
	v_fmamk_f32 v37, v10, 0x3eb8f4ab, v40
	v_fmac_f32_e32 v36, 0x3f4c4adb, v10
	v_fmac_f32_e32 v40, 0xbeb8f4ab, v10
	v_mul_f32_e32 v49, 0xbe3c28d5, v8
	v_add_f32_e32 v33, v33, v35
	v_add_f32_e32 v25, v37, v25
	v_fma_f32 v37, 0x3f6eb680, v9, -v48
	v_add_f32_e32 v34, v36, v34
	v_mul_f32_e32 v35, 0xbf7ba420, v47
	v_fmamk_f32 v36, v9, 0x3f6eb680, v48
	v_add_f32_e32 v39, v40, v39
	v_add_f32_e32 v37, v37, v41
	v_fmamk_f32 v40, v9, 0xbf7ba420, v49
	v_mul_f32_e32 v41, 0x3f3d2fb0, v47
	v_add_f32_e32 v23, v54, v23
	v_fmamk_f32 v48, v10, 0x3e3c28d5, v35
	v_add_f32_e32 v36, v36, v45
	v_fmac_f32_e32 v35, 0xbe3c28d5, v10
	v_mul_f32_e32 v45, 0x3f2c7751, v8
	v_add_f32_e32 v40, v40, v43
	v_fmamk_f32 v43, v10, 0xbf2c7751, v41
	v_mul_f32_e32 v47, 0xbe8c1d8e, v47
	v_fmac_f32_e32 v41, 0x3f2c7751, v10
	v_add_f32_e32 v26, v52, v26
	v_add_f32_e32 v23, v48, v23
	v_fma_f32 v48, 0xbf7ba420, v9, -v49
	v_add_f32_e32 v35, v35, v38
	v_fmamk_f32 v38, v9, 0x3f3d2fb0, v45
	v_add_f32_e32 v24, v43, v24
	v_fma_f32 v43, 0x3f3d2fb0, v9, -v45
	v_fmamk_f32 v45, v10, 0x3f763a35, v47
	v_add_f32_e32 v41, v41, v44
	v_add_f32_e32 v44, v4, v6
	v_add_f32_e32 v46, v48, v46
	v_mul_f32_e32 v8, 0xbf763a35, v8
	v_add_f32_e32 v26, v45, v26
	v_sub_f32_e32 v45, v5, v7
	v_mul_f32_e32 v48, 0xbf7ba420, v44
	v_sub_f32_e32 v4, v4, v6
	v_add_f32_e32 v42, v43, v42
	v_fmamk_f32 v43, v9, 0xbe8c1d8e, v8
	v_fma_f32 v6, 0xbe8c1d8e, v9, -v8
	v_add_f32_e32 v5, v5, v7
	v_fmamk_f32 v7, v45, 0x3e3c28d5, v48
	v_mul_f32_e32 v8, 0xbe3c28d5, v4
	v_fmac_f32_e32 v47, 0xbf763a35, v10
	v_add_f32_e32 v9, v43, v13
	v_add_f32_e32 v6, v6, v12
	;; [unrolled: 1-line block ×3, first 2 shown]
	v_fmamk_f32 v12, v5, 0xbf7ba420, v8
	v_mul_f32_e32 v13, 0x3f6eb680, v44
	v_fma_f32 v8, 0xbf7ba420, v5, -v8
	v_mul_f32_e32 v17, 0x3eb8f4ab, v4
	v_add_f32_e32 v10, v47, v20
	v_add_f32_e32 v12, v12, v16
	v_fmamk_f32 v16, v45, 0xbeb8f4ab, v13
	v_add_f32_e32 v8, v8, v11
	v_fmamk_f32 v11, v5, 0x3f6eb680, v17
	v_mul_f32_e32 v20, 0xbf59a7d5, v44
	v_fma_f32 v17, 0x3f6eb680, v5, -v17
	v_add_f32_e32 v16, v16, v18
	v_fmac_f32_e32 v13, 0x3eb8f4ab, v45
	v_add_f32_e32 v11, v11, v19
	v_fmamk_f32 v18, v45, 0x3f06c442, v20
	v_mul_f32_e32 v19, 0xbf06c442, v4
	v_add_f32_e32 v47, v17, v28
	v_mul_f32_e32 v17, 0x3f3d2fb0, v44
	v_fmac_f32_e32 v48, 0xbe3c28d5, v45
	v_add_f32_e32 v13, v13, v21
	v_add_f32_e32 v18, v18, v29
	v_fmamk_f32 v21, v5, 0xbf59a7d5, v19
	v_fmac_f32_e32 v20, 0xbf06c442, v45
	v_fma_f32 v19, 0xbf59a7d5, v5, -v19
	v_fmamk_f32 v28, v45, 0xbf2c7751, v17
	v_mul_f32_e32 v29, 0x3f2c7751, v4
	v_add_f32_e32 v14, v48, v14
	v_add_f32_e32 v31, v21, v31
	v_add_f32_e32 v15, v20, v15
	v_add_f32_e32 v48, v19, v27
	v_add_f32_e32 v19, v28, v30
	v_fmamk_f32 v20, v5, 0x3f3d2fb0, v29
	v_mul_f32_e32 v21, 0xbf1a4643, v44
	v_fma_f32 v27, 0x3f3d2fb0, v5, -v29
	v_mul_f32_e32 v28, 0xbf4c4adb, v4
	v_mul_f32_e32 v29, 0x3ee437d1, v44
	v_add_f32_e32 v32, v20, v32
	v_fmamk_f32 v20, v45, 0x3f4c4adb, v21
	v_add_f32_e32 v33, v27, v33
	v_fmamk_f32 v27, v5, 0xbf1a4643, v28
	v_add_f32_e32 v50, v50, v51
	v_fmac_f32_e32 v17, 0x3f2c7751, v45
	v_add_f32_e32 v20, v20, v25
	v_fma_f32 v25, 0xbf1a4643, v5, -v28
	v_add_f32_e32 v36, v27, v36
	v_fmamk_f32 v27, v45, 0xbf65296c, v29
	v_mul_f32_e32 v28, 0x3f65296c, v4
	v_fmac_f32_e32 v21, 0xbf4c4adb, v45
	v_add_f32_e32 v25, v25, v37
	v_mul_f32_e32 v30, 0xbe8c1d8e, v44
	v_add_f32_e32 v23, v27, v23
	v_fmamk_f32 v27, v5, 0x3ee437d1, v28
	v_fma_f32 v28, 0x3ee437d1, v5, -v28
	v_mul_f32_e32 v37, 0xbf763a35, v4
	v_add_f32_e32 v38, v38, v50
	v_add_f32_e32 v17, v17, v34
	v_add_f32_e32 v21, v21, v39
	v_fmac_f32_e32 v29, 0x3f65296c, v45
	v_fmamk_f32 v34, v45, 0x3f763a35, v30
	v_add_f32_e32 v39, v27, v40
	v_add_f32_e32 v40, v28, v46
	v_fmamk_f32 v28, v5, 0xbe8c1d8e, v37
	v_fmac_f32_e32 v30, 0xbf763a35, v45
	v_mul_f32_e32 v4, 0x3f7ee86f, v4
	v_add_f32_e32 v27, v29, v35
	v_fma_f32 v29, 0xbe8c1d8e, v5, -v37
	v_add_f32_e32 v37, v28, v38
	v_add_f32_e32 v28, v30, v41
	v_fmamk_f32 v30, v5, 0x3dbcf732, v4
	v_fma_f32 v4, 0x3dbcf732, v5, -v4
	v_add_f32_e32 v24, v34, v24
	v_mul_f32_e32 v34, 0x3dbcf732, v44
	v_mad_u32_u24 v41, 0x44, v0, 0
	v_add_f32_e32 v38, v29, v42
	v_add_f32_e32 v6, v4, v6
	v_and_b32_e32 v4, 0xff, v0
	v_fmamk_f32 v29, v45, 0xbf7ee86f, v34
	v_fmac_f32_e32 v34, 0x3f7ee86f, v45
	ds_write2_b32 v41, v1, v7 offset1:1
	ds_write2_b32 v41, v16, v18 offset0:2 offset1:3
	ds_write2_b32 v41, v19, v20 offset0:4 offset1:5
	v_lshlrev_b32_e32 v1, 6, v0
	v_mul_lo_u16 v4, 0xf1, v4
	v_add_f32_e32 v5, v29, v26
	v_add_f32_e32 v10, v34, v10
	ds_write2_b32 v41, v23, v24 offset0:6 offset1:7
	ds_write2_b32 v41, v5, v10 offset0:8 offset1:9
	;; [unrolled: 1-line block ×4, first 2 shown]
	v_lshrrev_b16 v4, 12, v4
	v_sub_nc_u32_e32 v1, v41, v1
	v_add_f32_e32 v9, v30, v9
	v_mov_b32_e32 v7, 7
	ds_write2_b32 v41, v15, v13 offset0:14 offset1:15
	ds_write_b32 v41, v14 offset:64
	v_mul_lo_u16 v5, v4, 17
	v_add_nc_u32_e32 v21, 0xc00, v1
	v_add_nc_u32_e32 v18, 0x200, v1
	v_add_nc_u32_e32 v50, 0xe00, v1
	v_add_nc_u32_e32 v19, 0x400, v1
	v_sub_nc_u16 v5, v0, v5
	v_add_nc_u32_e32 v53, 0x1200, v1
	v_add_nc_u32_e32 v20, 0x800, v1
	;; [unrolled: 1-line block ×3, first 2 shown]
	s_waitcnt lgkmcnt(0)
	s_barrier
	buffer_gl0_inv
	ds_read2_b32 v[16:17], v1 offset1:102
	ds_read2_b32 v[27:28], v18 offset0:76 offset1:178
	ds_read2_b32 v[29:30], v19 offset0:152 offset1:254
	;; [unrolled: 1-line block ×7, first 2 shown]
	ds_read_b32 v79, v1 offset:6528
	s_waitcnt lgkmcnt(0)
	s_barrier
	buffer_gl0_inv
	ds_write2_b32 v41, v22, v12 offset1:1
	ds_write2_b32 v41, v11, v31 offset0:2 offset1:3
	ds_write2_b32 v41, v32, v36 offset0:4 offset1:5
	ds_write2_b32 v41, v39, v37 offset0:6 offset1:7
	ds_write2_b32 v41, v9, v6 offset0:8 offset1:9
	ds_write2_b32 v41, v38, v40 offset0:10 offset1:11
	ds_write2_b32 v41, v25, v33 offset0:12 offset1:13
	ds_write2_b32 v41, v48, v47 offset0:14 offset1:15
	v_lshlrev_b32_sdwa v6, v7, v5 dst_sel:DWORD dst_unused:UNUSED_PAD src0_sel:DWORD src1_sel:BYTE_0
	ds_write_b32 v41, v8 offset:64
	s_waitcnt lgkmcnt(0)
	s_barrier
	buffer_gl0_inv
	s_clause 0x7
	global_load_dwordx4 v[8:11], v6, s[8:9]
	global_load_dwordx4 v[12:15], v6, s[8:9] offset:16
	global_load_dwordx4 v[23:26], v6, s[8:9] offset:32
	;; [unrolled: 1-line block ×7, first 2 shown]
	ds_read2_b32 v[6:7], v1 offset1:102
	ds_read2_b32 v[31:32], v18 offset0:76 offset1:178
	ds_read2_b32 v[74:75], v19 offset0:152 offset1:254
	;; [unrolled: 1-line block ×3, first 2 shown]
	v_cmp_gt_u32_e64 s0, 0x55, v0
	s_waitcnt vmcnt(7) lgkmcnt(3)
	v_mul_f32_e32 v18, v7, v9
	v_mul_f32_e32 v54, v17, v9
	s_waitcnt lgkmcnt(2)
	v_mul_f32_e32 v9, v31, v11
	v_mul_f32_e32 v51, v27, v11
	s_waitcnt vmcnt(6)
	v_mul_f32_e32 v38, v28, v13
	v_fma_f32 v55, v17, v8, -v18
	v_fmac_f32_e32 v54, v7, v8
	ds_read2_b32 v[7:8], v21 offset0:48 offset1:150
	v_fma_f32 v52, v27, v10, -v9
	v_mul_f32_e32 v9, v32, v13
	s_waitcnt lgkmcnt(2)
	v_mul_f32_e32 v11, v74, v15
	v_mul_f32_e32 v36, v29, v15
	v_fmac_f32_e32 v38, v32, v12
	v_fmac_f32_e32 v51, v31, v10
	v_fma_f32 v45, v28, v12, -v9
	v_fma_f32 v37, v29, v14, -v11
	s_waitcnt vmcnt(5)
	v_mul_f32_e32 v11, v75, v24
	s_waitcnt lgkmcnt(1)
	v_mul_f32_e32 v12, v76, v26
	v_mul_f32_e32 v32, v30, v24
	ds_read2_b32 v[9:10], v50 offset0:124 offset1:226
	v_fmac_f32_e32 v36, v74, v14
	v_fma_f32 v33, v30, v23, -v11
	v_mul_f32_e32 v28, v34, v26
	v_fma_f32 v29, v34, v25, -v12
	s_waitcnt vmcnt(4)
	v_mul_f32_e32 v13, v77, v40
	ds_read2_b32 v[11:12], v53 offset0:72 offset1:174
	v_mul_f32_e32 v24, v35, v40
	s_waitcnt lgkmcnt(2)
	v_mul_f32_e32 v14, v7, v42
	v_fmac_f32_e32 v28, v76, v25
	v_fma_f32 v25, v35, v39, -v13
	v_mul_f32_e32 v17, v43, v42
	v_fmac_f32_e32 v24, v77, v39
	v_fma_f32 v22, v43, v41, -v14
	ds_read2_b32 v[13:14], v78 offset0:148 offset1:250
	ds_read_b32 v39, v1 offset:6528
	s_waitcnt vmcnt(3)
	v_mul_f32_e32 v18, v44, v47
	v_mul_f32_e32 v15, v8, v47
	v_fmac_f32_e32 v17, v7, v41
	v_mul_f32_e32 v26, v68, v49
	s_waitcnt vmcnt(1)
	v_mul_f32_e32 v50, v79, v63
	v_fmac_f32_e32 v18, v8, v46
	s_waitcnt lgkmcnt(3)
	v_mul_f32_e32 v7, v10, v57
	v_mul_f32_e32 v27, v9, v49
	v_fmac_f32_e32 v26, v9, v48
	v_fmac_f32_e32 v32, v75, v23
	v_fma_f32 v23, v44, v46, -v15
	s_waitcnt lgkmcnt(2)
	v_mul_f32_e32 v8, v11, v59
	v_fma_f32 v31, v69, v56, -v7
	s_waitcnt vmcnt(0)
	v_mul_f32_e32 v7, v12, v65
	v_fma_f32 v27, v68, v48, -v27
	v_mul_f32_e32 v30, v69, v57
	v_fma_f32 v35, v70, v58, -v8
	v_mul_f32_e32 v46, v71, v65
	s_waitcnt lgkmcnt(1)
	v_mul_f32_e32 v8, v13, v67
	s_waitcnt lgkmcnt(0)
	v_mul_f32_e32 v9, v39, v63
	v_fmac_f32_e32 v50, v39, v62
	v_fma_f32 v47, v71, v64, -v7
	v_mul_f32_e32 v53, v73, v61
	v_fma_f32 v48, v72, v66, -v8
	v_fma_f32 v57, v79, v62, -v9
	v_sub_f32_e32 v7, v54, v50
	v_mul_f32_e32 v8, v14, v61
	v_mul_f32_e32 v34, v70, v59
	v_fmac_f32_e32 v30, v10, v56
	v_fmac_f32_e32 v46, v12, v64
	v_mul_f32_e32 v49, v72, v67
	v_add_f32_e32 v9, v55, v57
	v_mul_f32_e32 v10, 0xbeb8f4ab, v7
	v_fma_f32 v56, v73, v60, -v8
	v_mul_f32_e32 v8, 0xbf2c7751, v7
	v_fmac_f32_e32 v53, v14, v60
	v_mul_f32_e32 v12, 0xbf65296c, v7
	v_mul_f32_e32 v14, 0xbf7ee86f, v7
	;; [unrolled: 1-line block ×3, first 2 shown]
	v_fmac_f32_e32 v34, v11, v58
	v_fmac_f32_e32 v49, v13, v66
	v_fma_f32 v11, 0x3f6eb680, v9, -v10
	v_fma_f32 v13, 0x3f3d2fb0, v9, -v8
	;; [unrolled: 1-line block ×4, first 2 shown]
	v_mul_f32_e32 v41, 0xbf4c4adb, v7
	v_fma_f32 v42, 0xbe8c1d8e, v9, -v39
	v_mul_f32_e32 v43, 0xbf06c442, v7
	v_mul_f32_e32 v7, 0xbe3c28d5, v7
	v_fmac_f32_e32 v10, 0x3f6eb680, v9
	v_fmac_f32_e32 v8, 0x3f3d2fb0, v9
	;; [unrolled: 1-line block ×5, first 2 shown]
	v_fma_f32 v44, 0xbf1a4643, v9, -v41
	v_fmac_f32_e32 v41, 0xbf1a4643, v9
	v_fma_f32 v58, 0xbf59a7d5, v9, -v43
	v_fmac_f32_e32 v43, 0xbf59a7d5, v9
	;; [unrolled: 2-line block ×3, first 2 shown]
	v_add_f32_e32 v9, v16, v11
	v_add_f32_e32 v11, v16, v13
	;; [unrolled: 1-line block ×5, first 2 shown]
	v_sub_f32_e32 v42, v51, v53
	v_add_f32_e32 v60, v52, v56
	v_add_f32_e32 v10, v16, v10
	;; [unrolled: 1-line block ×4, first 2 shown]
	v_mul_f32_e32 v61, 0xbf2c7751, v42
	v_add_f32_e32 v14, v16, v14
	v_add_f32_e32 v39, v16, v39
	;; [unrolled: 1-line block ×8, first 2 shown]
	v_mul_f32_e32 v63, 0xbf7ee86f, v42
	v_fma_f32 v64, 0x3f3d2fb0, v60, -v61
	v_fmac_f32_e32 v61, 0x3f3d2fb0, v60
	v_add_f32_e32 v7, v16, v55
	v_mul_f32_e32 v16, 0xbf4c4adb, v42
	v_fma_f32 v65, 0x3dbcf732, v60, -v63
	v_add_f32_e32 v9, v64, v9
	v_add_f32_e32 v10, v61, v10
	v_fmac_f32_e32 v63, 0x3dbcf732, v60
	v_fma_f32 v61, 0xbf1a4643, v60, -v16
	v_mul_f32_e32 v64, 0xbe3c28d5, v42
	v_fmac_f32_e32 v16, 0xbf1a4643, v60
	v_add_f32_e32 v11, v65, v11
	v_add_f32_e32 v8, v63, v8
	;; [unrolled: 1-line block ×3, first 2 shown]
	v_fma_f32 v63, 0xbf7ba420, v60, -v64
	v_add_f32_e32 v12, v16, v12
	v_mul_f32_e32 v16, 0x3f763a35, v42
	v_mul_f32_e32 v61, 0x3f06c442, v42
	v_fmac_f32_e32 v64, 0xbf7ba420, v60
	v_add_f32_e32 v15, v63, v15
	v_add_f32_e32 v7, v7, v52
	v_fma_f32 v63, 0xbe8c1d8e, v60, -v16
	v_fma_f32 v65, 0xbf59a7d5, v60, -v61
	v_fmac_f32_e32 v61, 0xbf59a7d5, v60
	v_add_f32_e32 v14, v64, v14
	v_mul_f32_e32 v64, 0x3f65296c, v42
	v_add_f32_e32 v44, v63, v44
	v_mul_f32_e32 v42, 0x3eb8f4ab, v42
	v_fmac_f32_e32 v16, 0xbe8c1d8e, v60
	v_sub_f32_e32 v63, v38, v49
	v_add_f32_e32 v40, v65, v40
	v_add_f32_e32 v39, v61, v39
	v_fma_f32 v61, 0x3ee437d1, v60, -v64
	v_fmac_f32_e32 v64, 0x3ee437d1, v60
	v_fma_f32 v65, 0x3f6eb680, v60, -v42
	v_fmac_f32_e32 v42, 0x3f6eb680, v60
	v_add_f32_e32 v16, v16, v41
	v_add_f32_e32 v41, v45, v48
	v_mul_f32_e32 v60, 0xbf65296c, v63
	v_add_f32_e32 v58, v61, v58
	v_add_f32_e32 v43, v64, v43
	v_mul_f32_e32 v61, 0xbf4c4adb, v63
	v_add_f32_e32 v42, v42, v62
	v_fma_f32 v64, 0x3ee437d1, v41, -v60
	v_fmac_f32_e32 v60, 0x3ee437d1, v41
	v_mul_f32_e32 v62, 0x3e3c28d5, v63
	v_add_f32_e32 v59, v65, v59
	v_fma_f32 v65, 0xbf1a4643, v41, -v61
	v_add_f32_e32 v9, v64, v9
	v_add_f32_e32 v10, v60, v10
	v_fmac_f32_e32 v61, 0xbf1a4643, v41
	v_fma_f32 v60, 0xbf7ba420, v41, -v62
	v_mul_f32_e32 v64, 0x3f763a35, v63
	v_fmac_f32_e32 v62, 0xbf7ba420, v41
	v_add_f32_e32 v11, v65, v11
	v_add_f32_e32 v8, v61, v8
	;; [unrolled: 1-line block ×3, first 2 shown]
	v_mul_f32_e32 v60, 0x3f2c7751, v63
	v_fma_f32 v61, 0xbe8c1d8e, v41, -v64
	v_add_f32_e32 v12, v62, v12
	v_mul_f32_e32 v62, 0xbeb8f4ab, v63
	v_fmac_f32_e32 v64, 0xbe8c1d8e, v41
	v_fma_f32 v65, 0x3f3d2fb0, v41, -v60
	v_add_f32_e32 v15, v61, v15
	v_fmac_f32_e32 v60, 0x3f3d2fb0, v41
	v_fma_f32 v61, 0x3f6eb680, v41, -v62
	v_add_f32_e32 v14, v64, v14
	v_mul_f32_e32 v64, 0xbf7ee86f, v63
	v_fmac_f32_e32 v62, 0x3f6eb680, v41
	v_add_f32_e32 v39, v60, v39
	v_add_f32_e32 v44, v61, v44
	v_mul_f32_e32 v60, 0xbf06c442, v63
	v_fma_f32 v61, 0x3dbcf732, v41, -v64
	v_sub_f32_e32 v63, v36, v46
	v_add_f32_e32 v40, v65, v40
	v_fmac_f32_e32 v64, 0x3dbcf732, v41
	v_fma_f32 v65, 0xbf59a7d5, v41, -v60
	v_fmac_f32_e32 v60, 0xbf59a7d5, v41
	v_add_f32_e32 v16, v62, v16
	v_add_f32_e32 v41, v37, v47
	v_mul_f32_e32 v62, 0xbf7ee86f, v63
	v_add_f32_e32 v58, v61, v58
	v_mul_f32_e32 v61, 0xbe3c28d5, v63
	v_add_f32_e32 v43, v64, v43
	v_add_f32_e32 v59, v65, v59
	v_fma_f32 v64, 0x3dbcf732, v41, -v62
	v_fmac_f32_e32 v62, 0x3dbcf732, v41
	v_add_f32_e32 v42, v60, v42
	v_mul_f32_e32 v60, 0x3f763a35, v63
	v_fma_f32 v65, 0xbf7ba420, v41, -v61
	v_fmac_f32_e32 v61, 0xbf7ba420, v41
	v_add_f32_e32 v9, v64, v9
	v_add_f32_e32 v10, v62, v10
	v_fma_f32 v62, 0xbe8c1d8e, v41, -v60
	v_mul_f32_e32 v64, 0x3eb8f4ab, v63
	v_fmac_f32_e32 v60, 0xbe8c1d8e, v41
	v_add_f32_e32 v8, v61, v8
	v_mul_f32_e32 v61, 0xbf65296c, v63
	v_add_f32_e32 v11, v65, v11
	v_add_f32_e32 v13, v62, v13
	v_fma_f32 v62, 0x3f6eb680, v41, -v64
	v_add_f32_e32 v12, v60, v12
	v_mul_f32_e32 v60, 0xbf06c442, v63
	v_fmac_f32_e32 v64, 0x3f6eb680, v41
	v_fma_f32 v65, 0x3ee437d1, v41, -v61
	v_fmac_f32_e32 v61, 0x3ee437d1, v41
	v_add_f32_e32 v15, v62, v15
	v_fma_f32 v62, 0xbf59a7d5, v41, -v60
	v_add_f32_e32 v14, v64, v14
	v_mul_f32_e32 v64, 0x3f4c4adb, v63
	v_add_f32_e32 v39, v61, v39
	v_mul_f32_e32 v61, 0x3f2c7751, v63
	v_fmac_f32_e32 v60, 0xbf59a7d5, v41
	v_sub_f32_e32 v63, v32, v34
	v_add_f32_e32 v40, v65, v40
	v_add_f32_e32 v44, v62, v44
	v_fma_f32 v62, 0xbf1a4643, v41, -v64
	v_fmac_f32_e32 v64, 0xbf1a4643, v41
	v_fma_f32 v65, 0x3f3d2fb0, v41, -v61
	v_fmac_f32_e32 v61, 0x3f3d2fb0, v41
	v_add_f32_e32 v16, v60, v16
	v_add_f32_e32 v41, v33, v35
	v_mul_f32_e32 v60, 0xbf763a35, v63
	v_add_f32_e32 v43, v64, v43
	v_add_f32_e32 v42, v61, v42
	v_mul_f32_e32 v61, 0x3f2c7751, v63
	v_add_f32_e32 v58, v62, v58
	v_fma_f32 v64, 0xbe8c1d8e, v41, -v60
	v_fmac_f32_e32 v60, 0xbe8c1d8e, v41
	v_mul_f32_e32 v62, 0x3f06c442, v63
	v_add_f32_e32 v59, v65, v59
	v_add_f32_e32 v7, v7, v45
	v_add_f32_e32 v9, v64, v9
	v_add_f32_e32 v10, v60, v10
	v_fma_f32 v60, 0x3f3d2fb0, v41, -v61
	v_fma_f32 v65, 0xbf59a7d5, v41, -v62
	v_fmac_f32_e32 v62, 0xbf59a7d5, v41
	v_mul_f32_e32 v64, 0xbf65296c, v63
	v_fmac_f32_e32 v61, 0x3f3d2fb0, v41
	v_add_f32_e32 v13, v60, v13
	v_mul_f32_e32 v60, 0xbe3c28d5, v63
	v_add_f32_e32 v11, v65, v11
	v_add_f32_e32 v8, v62, v8
	v_fma_f32 v62, 0x3ee437d1, v41, -v64
	v_add_f32_e32 v12, v61, v12
	v_mul_f32_e32 v61, 0x3f7ee86f, v63
	v_fmac_f32_e32 v64, 0x3ee437d1, v41
	v_fma_f32 v65, 0xbf7ba420, v41, -v60
	v_fmac_f32_e32 v60, 0xbf7ba420, v41
	v_add_f32_e32 v15, v62, v15
	v_fma_f32 v62, 0x3dbcf732, v41, -v61
	v_add_f32_e32 v14, v64, v14
	v_mul_f32_e32 v64, 0xbeb8f4ab, v63
	v_add_f32_e32 v39, v60, v39
	v_mul_f32_e32 v60, 0xbf4c4adb, v63
	v_fmac_f32_e32 v61, 0x3dbcf732, v41
	v_sub_f32_e32 v63, v28, v30
	v_add_f32_e32 v40, v65, v40
	v_add_f32_e32 v44, v62, v44
	v_fma_f32 v62, 0x3f6eb680, v41, -v64
	v_fmac_f32_e32 v64, 0x3f6eb680, v41
	v_fma_f32 v65, 0xbf1a4643, v41, -v60
	v_fmac_f32_e32 v60, 0xbf1a4643, v41
	v_add_f32_e32 v16, v61, v16
	v_add_f32_e32 v41, v29, v31
	v_mul_f32_e32 v61, 0xbf4c4adb, v63
	v_add_f32_e32 v43, v64, v43
	v_add_f32_e32 v42, v60, v42
	v_mul_f32_e32 v60, 0xbeb8f4ab, v63
	v_add_f32_e32 v58, v62, v58
	v_fma_f32 v64, 0xbf1a4643, v41, -v61
	v_fmac_f32_e32 v61, 0xbf1a4643, v41
	v_mul_f32_e32 v62, 0x3f763a35, v63
	v_add_f32_e32 v59, v65, v59
	v_add_f32_e32 v7, v7, v37
	v_add_f32_e32 v9, v64, v9
	v_add_f32_e32 v10, v61, v10
	v_fma_f32 v61, 0x3f6eb680, v41, -v60
	v_fma_f32 v65, 0xbe8c1d8e, v41, -v62
	v_fmac_f32_e32 v62, 0xbe8c1d8e, v41
	;; [unrolled: 43-line block ×3, first 2 shown]
	v_fmac_f32_e32 v61, 0x3dbcf732, v41
	v_mul_f32_e32 v64, 0x3f4c4adb, v63
	v_add_f32_e32 v13, v60, v13
	v_mul_f32_e32 v60, 0xbeb8f4ab, v63
	v_add_f32_e32 v11, v65, v11
	v_add_f32_e32 v8, v62, v8
	;; [unrolled: 1-line block ×3, first 2 shown]
	v_fma_f32 v61, 0xbf1a4643, v41, -v64
	v_fma_f32 v65, 0x3f6eb680, v41, -v60
	v_fmac_f32_e32 v60, 0x3f6eb680, v41
	v_mul_f32_e32 v62, 0xbe3c28d5, v63
	v_fmac_f32_e32 v64, 0xbf1a4643, v41
	v_add_f32_e32 v7, v7, v29
	v_add_f32_e32 v15, v61, v15
	;; [unrolled: 1-line block ×3, first 2 shown]
	v_mul_f32_e32 v60, 0xbf763a35, v63
	v_fma_f32 v61, 0xbf7ba420, v41, -v62
	v_add_f32_e32 v14, v64, v14
	v_add_f32_e32 v64, v65, v40
	v_mul_f32_e32 v40, 0x3f2c7751, v63
	v_sub_f32_e32 v63, v17, v18
	v_fma_f32 v65, 0xbe8c1d8e, v41, -v60
	v_fmac_f32_e32 v60, 0xbe8c1d8e, v41
	v_add_f32_e32 v7, v7, v25
	v_add_f32_e32 v44, v61, v44
	v_fmac_f32_e32 v62, 0xbf7ba420, v41
	v_fma_f32 v61, 0x3f3d2fb0, v41, -v40
	v_fmac_f32_e32 v40, 0x3f3d2fb0, v41
	v_add_f32_e32 v66, v22, v23
	v_mul_f32_e32 v41, 0xbe3c28d5, v63
	v_add_f32_e32 v60, v60, v42
	v_mul_f32_e32 v42, 0x3eb8f4ab, v63
	v_add_f32_e32 v7, v7, v22
	v_add_f32_e32 v16, v62, v16
	;; [unrolled: 1-line block ×4, first 2 shown]
	v_fma_f32 v40, 0xbf7ba420, v66, -v41
	v_fmac_f32_e32 v41, 0xbf7ba420, v66
	v_mul_f32_e32 v43, 0xbf06c442, v63
	v_fma_f32 v62, 0x3f6eb680, v66, -v42
	v_fmac_f32_e32 v42, 0x3f6eb680, v66
	v_add_f32_e32 v7, v7, v23
	v_add_f32_e32 v9, v40, v9
	;; [unrolled: 1-line block ×3, first 2 shown]
	v_fma_f32 v10, 0xbf59a7d5, v66, -v43
	v_add_f32_e32 v41, v42, v8
	v_mul_f32_e32 v8, 0x3f2c7751, v63
	v_add_f32_e32 v7, v7, v27
	v_add_f32_e32 v11, v62, v11
	;; [unrolled: 1-line block ×3, first 2 shown]
	v_fmac_f32_e32 v43, 0xbf59a7d5, v66
	v_mul_f32_e32 v13, 0xbf4c4adb, v63
	v_fma_f32 v62, 0x3f3d2fb0, v66, -v8
	v_fmac_f32_e32 v8, 0x3f3d2fb0, v66
	v_add_f32_e32 v7, v7, v31
	v_add_f32_e32 v42, v43, v12
	v_fma_f32 v12, 0xbf1a4643, v66, -v13
	v_add_f32_e32 v15, v62, v15
	v_add_f32_e32 v43, v8, v14
	v_mul_f32_e32 v8, 0x3f65296c, v63
	v_mul_f32_e32 v14, 0xbf763a35, v63
	v_add_f32_e32 v7, v7, v35
	v_add_f32_e32 v12, v12, v64
	v_fmac_f32_e32 v13, 0xbf1a4643, v66
	v_fma_f32 v62, 0x3ee437d1, v66, -v8
	v_fmac_f32_e32 v8, 0x3ee437d1, v66
	v_fma_f32 v64, 0xbe8c1d8e, v66, -v14
	v_add_f32_e32 v7, v7, v47
	v_add_f32_e32 v39, v13, v39
	;; [unrolled: 1-line block ×5, first 2 shown]
	v_mov_b32_e32 v58, 0x484
	v_add_f32_e32 v7, v7, v48
	v_mov_b32_e32 v62, 2
	v_mul_f32_e32 v44, 0x3f7ee86f, v63
	v_add_f32_e32 v59, v65, v59
	v_mul_u32_u24_sdwa v4, v4, v58 dst_sel:DWORD dst_unused:UNUSED_PAD src0_sel:WORD_0 src1_sel:DWORD
	v_add_f32_e32 v7, v7, v56
	v_lshlrev_b32_sdwa v5, v62, v5 dst_sel:DWORD dst_unused:UNUSED_PAD src0_sel:DWORD src1_sel:BYTE_0
	v_fma_f32 v63, 0x3dbcf732, v66, -v44
	v_fmac_f32_e32 v44, 0x3dbcf732, v66
	v_fmac_f32_e32 v14, 0xbe8c1d8e, v66
	v_add_f32_e32 v7, v7, v57
	v_add3_u32 v58, 0, v4, v5
	v_add_f32_e32 v59, v63, v59
	v_add_f32_e32 v4, v44, v60
	;; [unrolled: 1-line block ×3, first 2 shown]
	s_barrier
	buffer_gl0_inv
	ds_write2_b32 v58, v7, v9 offset1:17
	ds_write2_b32 v58, v11, v10 offset0:34 offset1:51
	ds_write2_b32 v58, v15, v12 offset0:68 offset1:85
	;; [unrolled: 1-line block ×7, first 2 shown]
	ds_write_b32 v58, v40 offset:1088
	v_add_nc_u32_e32 v59, 0x1000, v1
	v_add_nc_u32_e32 v60, 0x1600, v1
	s_waitcnt lgkmcnt(0)
	s_barrier
	buffer_gl0_inv
	ds_read2_b32 v[4:5], v1 offset1:102
	ds_read2_b32 v[11:12], v19 offset0:33 offset1:135
	ds_read2_b32 v[15:16], v20 offset0:66 offset1:168
	;; [unrolled: 1-line block ×5, first 2 shown]
                                        ; implicit-def: $vgpr44
	s_and_saveexec_b32 s1, s0
	s_cbranch_execz .LBB0_13
; %bb.12:
	ds_read_b32 v39, v1 offset:816
	ds_read_b32 v43, v1 offset:1972
	;; [unrolled: 1-line block ×6, first 2 shown]
.LBB0_13:
	s_or_b32 exec_lo, exec_lo, s1
	v_add_f32_e32 v61, v6, v54
	v_sub_f32_e32 v55, v55, v57
	v_add_f32_e32 v57, v51, v53
	v_add_f32_e32 v54, v54, v50
	v_sub_f32_e32 v52, v52, v56
	v_add_f32_e32 v51, v61, v51
	v_mul_f32_e32 v56, 0xbeb8f4ab, v55
	v_mul_f32_e32 v61, 0xbf2c7751, v55
	;; [unrolled: 1-line block ×4, first 2 shown]
	v_add_f32_e32 v51, v51, v38
	v_mul_f32_e32 v64, 0xbf763a35, v55
	v_mul_f32_e32 v65, 0xbf4c4adb, v55
	;; [unrolled: 1-line block ×4, first 2 shown]
	v_add_f32_e32 v51, v51, v36
	v_mul_f32_e32 v67, 0xbf2c7751, v52
	v_mul_f32_e32 v68, 0xbf7ee86f, v52
	v_fmamk_f32 v72, v54, 0x3f6eb680, v56
	v_fma_f32 v56, 0x3f6eb680, v54, -v56
	v_add_f32_e32 v51, v51, v32
	v_fmamk_f32 v73, v54, 0x3f3d2fb0, v61
	v_fma_f32 v61, 0x3f3d2fb0, v54, -v61
	v_mul_f32_e32 v70, 0xbe3c28d5, v52
	v_mul_f32_e32 v71, 0x3f06c442, v52
	v_add_f32_e32 v51, v51, v28
	v_fmamk_f32 v74, v54, 0x3ee437d1, v62
	v_fma_f32 v62, 0x3ee437d1, v54, -v62
	v_fmamk_f32 v75, v54, 0x3dbcf732, v63
	v_fma_f32 v63, 0x3dbcf732, v54, -v63
	v_add_f32_e32 v51, v51, v24
	v_fmamk_f32 v76, v54, 0xbe8c1d8e, v64
	v_fma_f32 v64, 0xbe8c1d8e, v54, -v64
	v_fmamk_f32 v77, v54, 0xbf1a4643, v65
	v_fma_f32 v65, 0xbf1a4643, v54, -v65
	;; [unrolled: 5-line block ×4, first 2 shown]
	v_add_f32_e32 v51, v51, v26
	v_add_f32_e32 v56, v6, v56
	;; [unrolled: 1-line block ×6, first 2 shown]
	v_mul_f32_e32 v69, 0xbf4c4adb, v52
	v_add_f32_e32 v65, v6, v65
	v_sub_f32_e32 v45, v45, v48
	v_add_f32_e32 v72, v6, v72
	v_add_f32_e32 v51, v51, v34
	v_fmamk_f32 v81, v57, 0xbf1a4643, v69
	v_fma_f32 v69, 0xbf1a4643, v57, -v69
	v_add_f32_e32 v73, v6, v73
	v_add_f32_e32 v74, v6, v74
	;; [unrolled: 1-line block ×15, first 2 shown]
	v_fma_f32 v67, 0xbf7ba420, v57, -v70
	v_mul_f32_e32 v68, 0x3f763a35, v52
	v_add_f32_e32 v50, v51, v50
	v_fmamk_f32 v51, v57, 0xbf7ba420, v70
	v_fma_f32 v70, 0xbf59a7d5, v57, -v71
	v_add_f32_e32 v63, v67, v63
	v_fmamk_f32 v67, v57, 0xbe8c1d8e, v68
	v_fma_f32 v68, 0xbe8c1d8e, v57, -v68
	v_add_f32_e32 v38, v38, v49
	v_add_f32_e32 v64, v70, v64
	v_mul_f32_e32 v70, 0x3f65296c, v52
	v_mul_f32_e32 v52, 0x3eb8f4ab, v52
	v_add_f32_e32 v65, v68, v65
	v_mul_f32_e32 v49, 0xbf65296c, v45
	v_add_f32_e32 v54, v55, v72
	v_fmamk_f32 v48, v57, 0x3ee437d1, v70
	v_fma_f32 v68, 0x3ee437d1, v57, -v70
	v_fmamk_f32 v70, v57, 0x3f6eb680, v52
	v_fma_f32 v52, 0x3f6eb680, v57, -v52
	v_add_f32_e32 v62, v69, v62
	v_fmamk_f32 v69, v57, 0xbf59a7d5, v71
	v_add_f32_e32 v57, v68, v66
	v_add_f32_e32 v66, v70, v79
	v_fmamk_f32 v68, v38, 0x3ee437d1, v49
	v_mul_f32_e32 v70, 0xbf4c4adb, v45
	v_add_f32_e32 v6, v52, v6
	v_fma_f32 v49, 0x3ee437d1, v38, -v49
	v_mul_f32_e32 v52, 0x3e3c28d5, v45
	v_add_f32_e32 v54, v68, v54
	v_fmamk_f32 v68, v38, 0xbf1a4643, v70
	v_fma_f32 v70, 0xbf1a4643, v38, -v70
	v_add_f32_e32 v49, v49, v53
	v_fmamk_f32 v53, v38, 0xbf7ba420, v52
	v_mul_f32_e32 v71, 0x3f763a35, v45
	v_fma_f32 v52, 0xbf7ba420, v38, -v52
	v_add_f32_e32 v55, v80, v73
	v_add_f32_e32 v61, v81, v74
	;; [unrolled: 1-line block ×3, first 2 shown]
	v_fma_f32 v70, 0xbe8c1d8e, v38, -v71
	v_add_f32_e32 v52, v52, v62
	v_mul_f32_e32 v62, 0xbeb8f4ab, v45
	v_add_f32_e32 v51, v51, v75
	v_add_f32_e32 v55, v68, v55
	;; [unrolled: 1-line block ×3, first 2 shown]
	v_fmamk_f32 v61, v38, 0xbe8c1d8e, v71
	v_mul_f32_e32 v68, 0x3f2c7751, v45
	v_add_f32_e32 v63, v70, v63
	v_fmamk_f32 v70, v38, 0x3f6eb680, v62
	v_mul_f32_e32 v71, 0xbf7ee86f, v45
	v_fma_f32 v62, 0x3f6eb680, v38, -v62
	v_mul_f32_e32 v45, 0xbf06c442, v45
	v_sub_f32_e32 v37, v37, v47
	v_add_f32_e32 v51, v61, v51
	v_fmamk_f32 v61, v38, 0x3f3d2fb0, v68
	v_fma_f32 v68, 0x3f3d2fb0, v38, -v68
	v_add_f32_e32 v62, v62, v65
	v_fma_f32 v47, 0x3dbcf732, v38, -v71
	v_fmamk_f32 v65, v38, 0xbf59a7d5, v45
	v_add_f32_e32 v36, v36, v46
	v_mul_f32_e32 v46, 0xbf7ee86f, v37
	v_add_f32_e32 v64, v68, v64
	v_fmamk_f32 v68, v38, 0x3dbcf732, v71
	v_add_f32_e32 v47, v47, v57
	v_fma_f32 v38, 0xbf59a7d5, v38, -v45
	v_add_f32_e32 v45, v65, v66
	v_mul_f32_e32 v57, 0xbe3c28d5, v37
	v_fmamk_f32 v65, v36, 0x3dbcf732, v46
	v_fma_f32 v46, 0x3dbcf732, v36, -v46
	v_add_f32_e32 v6, v38, v6
	v_mul_f32_e32 v38, 0x3f763a35, v37
	v_fmamk_f32 v66, v36, 0xbf7ba420, v57
	v_add_f32_e32 v54, v65, v54
	v_add_f32_e32 v46, v46, v49
	v_fma_f32 v49, 0xbf7ba420, v36, -v57
	v_fmamk_f32 v57, v36, 0xbe8c1d8e, v38
	v_mul_f32_e32 v65, 0x3eb8f4ab, v37
	v_fma_f32 v38, 0xbe8c1d8e, v36, -v38
	v_add_f32_e32 v55, v66, v55
	v_add_f32_e32 v49, v49, v56
	v_mul_f32_e32 v56, 0xbf65296c, v37
	v_add_f32_e32 v53, v57, v53
	v_fmamk_f32 v57, v36, 0x3f6eb680, v65
	v_add_f32_e32 v38, v38, v52
	v_fma_f32 v52, 0x3f6eb680, v36, -v65
	v_mul_f32_e32 v65, 0xbf06c442, v37
	v_fmamk_f32 v66, v36, 0x3ee437d1, v56
	v_fma_f32 v56, 0x3ee437d1, v36, -v56
	v_add_f32_e32 v48, v48, v78
	v_add_f32_e32 v52, v52, v63
	v_fma_f32 v63, 0xbf59a7d5, v36, -v65
	v_sub_f32_e32 v33, v33, v35
	v_add_f32_e32 v56, v56, v64
	v_mul_f32_e32 v64, 0x3f4c4adb, v37
	v_mul_f32_e32 v37, 0x3f2c7751, v37
	v_add_f32_e32 v48, v68, v48
	v_add_f32_e32 v51, v57, v51
	v_fmamk_f32 v57, v36, 0xbf59a7d5, v65
	v_add_f32_e32 v62, v63, v62
	v_fmamk_f32 v35, v36, 0xbf1a4643, v64
	v_fma_f32 v63, 0xbf1a4643, v36, -v64
	v_fmamk_f32 v64, v36, 0x3f3d2fb0, v37
	v_add_f32_e32 v32, v32, v34
	v_mul_f32_e32 v34, 0xbf763a35, v33
	v_fma_f32 v36, 0x3f3d2fb0, v36, -v37
	v_add_f32_e32 v35, v35, v48
	v_add_f32_e32 v37, v63, v47
	v_mul_f32_e32 v48, 0x3f06c442, v33
	v_fmamk_f32 v47, v32, 0xbe8c1d8e, v34
	v_add_f32_e32 v6, v36, v6
	v_fma_f32 v34, 0xbe8c1d8e, v32, -v34
	v_mul_f32_e32 v36, 0x3f2c7751, v33
	v_mul_f32_e32 v63, 0xbf65296c, v33
	v_add_f32_e32 v47, v47, v54
	v_fmamk_f32 v54, v32, 0xbf59a7d5, v48
	v_fma_f32 v48, 0xbf59a7d5, v32, -v48
	v_add_f32_e32 v34, v34, v46
	v_fmamk_f32 v46, v32, 0x3f3d2fb0, v36
	v_fma_f32 v36, 0x3f3d2fb0, v32, -v36
	v_add_f32_e32 v54, v54, v55
	v_add_f32_e32 v48, v48, v49
	v_fmamk_f32 v49, v32, 0x3ee437d1, v63
	v_add_f32_e32 v46, v46, v53
	v_mul_f32_e32 v53, 0xbe3c28d5, v33
	v_fma_f32 v55, 0x3ee437d1, v32, -v63
	v_mul_f32_e32 v63, 0xbeb8f4ab, v33
	v_add_f32_e32 v49, v49, v51
	v_add_f32_e32 v36, v36, v38
	v_fmamk_f32 v51, v32, 0xbf7ba420, v53
	v_fma_f32 v53, 0xbf7ba420, v32, -v53
	v_mul_f32_e32 v38, 0x3f7ee86f, v33
	v_mul_f32_e32 v33, 0xbf4c4adb, v33
	v_sub_f32_e32 v29, v29, v31
	v_add_f32_e32 v45, v64, v45
	v_add_f32_e32 v53, v53, v56
	v_fmamk_f32 v56, v32, 0x3f6eb680, v63
	v_add_f32_e32 v52, v55, v52
	v_fmamk_f32 v55, v32, 0x3dbcf732, v38
	v_fma_f32 v38, 0x3dbcf732, v32, -v38
	v_fma_f32 v31, 0x3f6eb680, v32, -v63
	v_add_f32_e32 v35, v56, v35
	v_fmamk_f32 v56, v32, 0xbf1a4643, v33
	v_add_f32_e32 v28, v28, v30
	v_mul_f32_e32 v30, 0xbf4c4adb, v29
	v_fma_f32 v32, 0xbf1a4643, v32, -v33
	v_add_f32_e32 v31, v31, v37
	v_add_f32_e32 v33, v56, v45
	v_mul_f32_e32 v37, 0x3f763a35, v29
	v_fmamk_f32 v45, v28, 0xbf1a4643, v30
	v_fma_f32 v30, 0xbf1a4643, v28, -v30
	v_add_f32_e32 v6, v32, v6
	v_mul_f32_e32 v32, 0xbeb8f4ab, v29
	v_fmamk_f32 v56, v28, 0xbe8c1d8e, v37
	v_add_f32_e32 v45, v45, v47
	v_add_f32_e32 v30, v30, v34
	v_fma_f32 v34, 0xbe8c1d8e, v28, -v37
	v_fmamk_f32 v37, v28, 0x3f6eb680, v32
	v_add_f32_e32 v47, v56, v54
	v_mul_f32_e32 v54, 0xbf06c442, v29
	v_fma_f32 v32, 0x3f6eb680, v28, -v32
	v_add_f32_e32 v34, v34, v48
	v_add_f32_e32 v37, v37, v46
	v_mul_f32_e32 v46, 0x3f7ee86f, v29
	v_fmamk_f32 v48, v28, 0xbf59a7d5, v54
	v_add_f32_e32 v32, v32, v36
	v_fma_f32 v36, 0xbf59a7d5, v28, -v54
	v_mul_f32_e32 v54, 0xbf2c7751, v29
	v_fmamk_f32 v56, v28, 0x3dbcf732, v46
	v_fma_f32 v46, 0x3dbcf732, v28, -v46
	v_add_f32_e32 v38, v38, v62
	v_add_f32_e32 v36, v36, v52
	v_fma_f32 v52, 0x3f3d2fb0, v28, -v54
	v_sub_f32_e32 v25, v25, v27
	v_add_f32_e32 v46, v46, v53
	v_mul_f32_e32 v53, 0xbe3c28d5, v29
	v_mul_f32_e32 v29, 0x3f65296c, v29
	v_add_f32_e32 v67, v67, v77
	v_add_f32_e32 v48, v48, v49
	v_fmamk_f32 v49, v28, 0x3f3d2fb0, v54
	v_add_f32_e32 v38, v52, v38
	v_fmamk_f32 v27, v28, 0xbf7ba420, v53
	v_fma_f32 v52, 0xbf7ba420, v28, -v53
	v_fmamk_f32 v53, v28, 0x3ee437d1, v29
	v_add_f32_e32 v24, v24, v26
	v_mul_f32_e32 v26, 0xbf06c442, v25
	v_fma_f32 v28, 0x3ee437d1, v28, -v29
	v_add_f32_e32 v67, v70, v67
	v_add_f32_e32 v27, v27, v35
	;; [unrolled: 1-line block ×4, first 2 shown]
	v_fmamk_f32 v33, v24, 0xbf59a7d5, v26
	v_mul_f32_e32 v35, 0x3f65296c, v25
	v_add_f32_e32 v6, v28, v6
	v_fma_f32 v26, 0xbf59a7d5, v24, -v26
	v_mul_f32_e32 v28, 0xbf7ee86f, v25
	v_add_f32_e32 v57, v57, v67
	v_add_f32_e32 v33, v33, v45
	v_fmamk_f32 v45, v24, 0x3ee437d1, v35
	v_add_f32_e32 v26, v26, v30
	v_fmamk_f32 v30, v24, 0x3dbcf732, v28
	v_mul_f32_e32 v52, 0x3f4c4adb, v25
	v_fma_f32 v28, 0x3dbcf732, v24, -v28
	v_add_f32_e32 v55, v55, v57
	v_fma_f32 v35, 0x3ee437d1, v24, -v35
	v_add_f32_e32 v47, v45, v47
	;; [unrolled: 2-line block ×3, first 2 shown]
	v_mul_f32_e32 v32, 0xbe3c28d5, v25
	v_add_f32_e32 v49, v49, v55
	v_add_f32_e32 v34, v35, v34
	;; [unrolled: 1-line block ×3, first 2 shown]
	v_fmamk_f32 v35, v24, 0xbf1a4643, v52
	v_mul_f32_e32 v37, 0xbeb8f4ab, v25
	v_add_f32_e32 v36, v45, v36
	v_fmamk_f32 v45, v24, 0xbf7ba420, v32
	v_mul_f32_e32 v52, 0x3f2c7751, v25
	v_fma_f32 v32, 0xbf7ba420, v24, -v32
	v_mul_f32_e32 v25, 0xbf763a35, v25
	v_sub_f32_e32 v22, v22, v23
	v_add_f32_e32 v69, v69, v76
	v_add_f32_e32 v35, v35, v48
	v_fmamk_f32 v48, v24, 0x3f6eb680, v37
	v_fma_f32 v37, 0x3f6eb680, v24, -v37
	v_add_f32_e32 v49, v45, v49
	v_fmamk_f32 v45, v24, 0x3f3d2fb0, v52
	v_add_f32_e32 v32, v32, v38
	v_fma_f32 v23, 0x3f3d2fb0, v24, -v52
	v_fmamk_f32 v38, v24, 0xbe8c1d8e, v25
	v_add_f32_e32 v17, v17, v18
	v_mul_f32_e32 v18, 0xbe3c28d5, v22
	v_fma_f32 v24, 0xbe8c1d8e, v24, -v25
	v_add_f32_e32 v61, v61, v69
	v_add_f32_e32 v23, v23, v29
	;; [unrolled: 1-line block ×3, first 2 shown]
	v_mul_f32_e32 v29, 0x3eb8f4ab, v22
	v_fmamk_f32 v31, v17, 0xbf7ba420, v18
	v_fma_f32 v18, 0xbf7ba420, v17, -v18
	v_add_f32_e32 v24, v24, v6
	v_mul_f32_e32 v6, 0xbf06c442, v22
	v_add_f32_e32 v61, v66, v61
	v_add_f32_e32 v27, v45, v27
	v_fmamk_f32 v38, v17, 0x3f6eb680, v29
	v_add_f32_e32 v31, v31, v33
	v_add_f32_e32 v45, v18, v26
	v_fma_f32 v18, 0x3f6eb680, v17, -v29
	v_fmamk_f32 v26, v17, 0xbf59a7d5, v6
	v_mul_f32_e32 v33, 0x3f2c7751, v22
	v_fma_f32 v6, 0xbf59a7d5, v17, -v6
	v_add_f32_e32 v51, v51, v61
	v_add_f32_e32 v37, v37, v46
	;; [unrolled: 1-line block ×5, first 2 shown]
	v_mul_f32_e32 v26, 0xbf4c4adb, v22
	v_fmamk_f32 v30, v17, 0x3f3d2fb0, v33
	v_add_f32_e32 v47, v6, v28
	v_mul_f32_e32 v28, 0x3f65296c, v22
	v_add_f32_e32 v51, v56, v51
	v_fma_f32 v6, 0x3f3d2fb0, v17, -v33
	v_fmamk_f32 v33, v17, 0xbf1a4643, v26
	v_add_f32_e32 v30, v30, v35
	v_fma_f32 v26, 0xbf1a4643, v17, -v26
	v_fmamk_f32 v34, v17, 0x3ee437d1, v28
	v_mul_f32_e32 v35, 0xbf763a35, v22
	v_mul_f32_e32 v22, 0x3f7ee86f, v22
	v_add_f32_e32 v51, v48, v51
	v_add_f32_e32 v48, v6, v36
	;; [unrolled: 1-line block ×4, first 2 shown]
	v_fmamk_f32 v34, v17, 0xbe8c1d8e, v35
	v_fma_f32 v28, 0x3ee437d1, v17, -v28
	v_fma_f32 v35, 0xbe8c1d8e, v17, -v35
	v_fmamk_f32 v36, v17, 0x3dbcf732, v22
	v_fma_f32 v17, 0x3dbcf732, v17, -v22
	v_add_f32_e32 v33, v33, v51
	v_add_f32_e32 v27, v34, v27
	;; [unrolled: 1-line block ×6, first 2 shown]
	s_waitcnt lgkmcnt(0)
	s_barrier
	buffer_gl0_inv
	ds_write2_b32 v58, v50, v31 offset1:17
	ds_write2_b32 v58, v29, v18 offset0:34 offset1:51
	ds_write2_b32 v58, v30, v33 offset0:68 offset1:85
	;; [unrolled: 1-line block ×7, first 2 shown]
	ds_write_b32 v58, v45 offset:1088
	s_waitcnt lgkmcnt(0)
	s_barrier
	buffer_gl0_inv
	ds_read2_b32 v[17:18], v1 offset1:102
	ds_read2_b32 v[25:26], v19 offset0:33 offset1:135
	ds_read2_b32 v[31:32], v20 offset0:66 offset1:168
	;; [unrolled: 1-line block ×5, first 2 shown]
                                        ; implicit-def: $vgpr49
	s_and_saveexec_b32 s1, s0
	s_cbranch_execz .LBB0_15
; %bb.14:
	ds_read_b32 v6, v1 offset:816
	ds_read_b32 v48, v1 offset:1972
	;; [unrolled: 1-line block ×6, first 2 shown]
.LBB0_15:
	s_or_b32 exec_lo, exec_lo, s1
	s_and_saveexec_b32 s1, vcc_lo
	s_cbranch_execz .LBB0_18
; %bb.16:
	v_add_nc_u32_e32 v1, 0x66, v0
	v_mul_u32_u24_e32 v19, 5, v0
	v_mul_u32_u24_e32 v1, 5, v1
	v_lshlrev_b32_e32 v19, 3, v19
	v_lshlrev_b32_e32 v1, 3, v1
	v_add_co_u32 v33, s1, s8, v19
	v_add_co_ci_u32_e64 v34, null, s9, 0, s1
	v_add_co_u32 v1, s1, s8, v1
	v_add_co_ci_u32_e64 v35, null, s9, 0, s1
	v_add_co_u32 v19, vcc_lo, 0x800, v33
	v_add_co_ci_u32_e32 v20, vcc_lo, 0, v34, vcc_lo
	v_add_co_u32 v23, vcc_lo, 0x800, v1
	v_add_co_ci_u32_e32 v24, vcc_lo, 0, v35, vcc_lo
	;; [unrolled: 2-line block ×3, first 2 shown]
	global_load_dwordx4 v[50:53], v[19:20], off offset:128
	v_add_co_u32 v19, vcc_lo, 0x880, v1
	v_add_co_ci_u32_e32 v20, vcc_lo, 0, v35, vcc_lo
	s_clause 0x4
	global_load_dwordx2 v[66:67], v[33:34], off offset:32
	global_load_dwordx4 v[54:57], v[23:24], off offset:128
	global_load_dwordx4 v[58:61], v[19:20], off offset:16
	global_load_dwordx2 v[68:69], v[19:20], off offset:32
	global_load_dwordx4 v[62:65], v[33:34], off offset:16
	v_mov_b32_e32 v1, 0
	v_add_co_u32 v2, vcc_lo, s2, v2
	v_add_co_ci_u32_e32 v3, vcc_lo, s3, v3, vcc_lo
	v_lshlrev_b64 v[19:20], 3, v[0:1]
	v_add_co_u32 v19, vcc_lo, v2, v19
	v_add_co_ci_u32_e32 v20, vcc_lo, v3, v20, vcc_lo
	v_add_co_u32 v2, vcc_lo, 0x800, v19
	v_add_co_ci_u32_e32 v3, vcc_lo, 0, v20, vcc_lo
	;; [unrolled: 2-line block ×7, first 2 shown]
	s_waitcnt vmcnt(5) lgkmcnt(3)
	v_mul_f32_e32 v72, v31, v53
	v_mul_f32_e32 v53, v15, v53
	s_waitcnt vmcnt(4) lgkmcnt(0)
	v_mul_f32_e32 v74, v29, v67
	v_mul_f32_e32 v67, v13, v67
	s_waitcnt vmcnt(3)
	v_mul_f32_e32 v75, v32, v57
	s_waitcnt vmcnt(2)
	v_mul_f32_e32 v76, v28, v61
	v_mul_f32_e32 v57, v16, v57
	;; [unrolled: 1-line block ×5, first 2 shown]
	s_waitcnt vmcnt(1)
	v_mul_f32_e32 v79, v30, v69
	v_mul_f32_e32 v59, v8, v59
	v_mul_f32_e32 v69, v14, v69
	v_fma_f32 v15, v15, v52, -v72
	v_fmac_f32_e32 v53, v31, v52
	s_waitcnt vmcnt(0)
	v_mul_f32_e32 v52, v21, v63
	v_mul_f32_e32 v63, v7, v63
	;; [unrolled: 1-line block ×7, first 2 shown]
	v_fma_f32 v13, v13, v66, -v74
	v_fmac_f32_e32 v67, v29, v66
	v_fma_f32 v16, v16, v56, -v75
	v_fma_f32 v10, v10, v60, -v76
	v_fmac_f32_e32 v57, v32, v56
	v_fmac_f32_e32 v61, v28, v60
	v_fma_f32 v12, v12, v54, -v77
	v_fma_f32 v8, v8, v58, -v78
	;; [unrolled: 1-line block ×3, first 2 shown]
	v_fmac_f32_e32 v59, v22, v58
	v_fmac_f32_e32 v69, v30, v68
	v_fma_f32 v7, v7, v62, -v52
	v_fmac_f32_e32 v63, v21, v62
	v_fma_f32 v11, v11, v50, -v73
	v_fmac_f32_e32 v51, v25, v50
	v_fmac_f32_e32 v55, v26, v54
	v_fma_f32 v9, v9, v64, -v72
	v_fmac_f32_e32 v31, v27, v64
	v_add_f32_e32 v22, v4, v15
	v_sub_f32_e32 v25, v16, v10
	v_add_f32_e32 v26, v57, v61
	v_add_f32_e32 v27, v8, v14
	v_sub_f32_e32 v29, v8, v14
	v_add_f32_e32 v30, v59, v69
	v_add_f32_e32 v32, v18, v57
	;; [unrolled: 1-line block ×8, first 2 shown]
	v_sub_f32_e32 v28, v59, v69
	v_add_f32_e32 v50, v55, v59
	v_sub_f32_e32 v56, v15, v9
	v_sub_f32_e32 v59, v63, v67
	;; [unrolled: 1-line block ×3, first 2 shown]
	v_add_f32_e32 v63, v51, v63
	v_add_f32_e32 v15, v15, v9
	;; [unrolled: 1-line block ×4, first 2 shown]
	v_fma_f32 v18, -0.5, v26, v18
	v_fma_f32 v26, -0.5, v27, v12
	;; [unrolled: 1-line block ×3, first 2 shown]
	v_add_f32_e32 v9, v32, v61
	v_add_f32_e32 v10, v16, v10
	;; [unrolled: 1-line block ×3, first 2 shown]
	v_fma_f32 v16, -0.5, v58, v11
	v_fma_f32 v32, -0.5, v62, v51
	v_sub_f32_e32 v54, v57, v61
	v_add_f32_e32 v57, v53, v31
	v_add_f32_e32 v21, v21, v31
	;; [unrolled: 1-line block ×3, first 2 shown]
	v_fma_f32 v30, -0.5, v52, v5
	v_add_f32_e32 v11, v63, v67
	v_fma_f32 v15, -0.5, v15, v4
	v_add_f32_e32 v13, v7, v13
	v_fmamk_f32 v51, v28, 0xbf5db3d7, v26
	v_fmamk_f32 v52, v29, 0x3f5db3d7, v27
	v_fmac_f32_e32 v27, 0xbf5db3d7, v29
	v_fmac_f32_e32 v26, 0x3f5db3d7, v28
	v_sub_f32_e32 v4, v10, v14
	v_add_f32_e32 v7, v10, v14
	v_fmamk_f32 v14, v59, 0xbf5db3d7, v16
	v_fmamk_f32 v29, v60, 0x3f5db3d7, v32
	v_fmac_f32_e32 v32, 0xbf5db3d7, v60
	v_fmac_f32_e32 v16, 0x3f5db3d7, v59
	v_fma_f32 v17, -0.5, v57, v17
	v_sub_f32_e32 v31, v53, v31
	v_sub_f32_e32 v5, v9, v12
	v_add_f32_e32 v8, v9, v12
	v_sub_f32_e32 v10, v21, v11
	v_sub_f32_e32 v9, v22, v13
	v_add_f32_e32 v12, v21, v11
	v_add_f32_e32 v11, v22, v13
	v_mul_f32_e32 v21, 0xbf5db3d7, v26
	v_mul_f32_e32 v22, -0.5, v51
	v_mul_f32_e32 v55, 0xbf5db3d7, v16
	v_mul_f32_e32 v57, 0x3f5db3d7, v32
	v_fmamk_f32 v50, v25, 0x3f5db3d7, v18
	v_fmac_f32_e32 v18, 0xbf5db3d7, v25
	v_fmamk_f32 v25, v54, 0xbf5db3d7, v30
	v_fmac_f32_e32 v30, 0x3f5db3d7, v54
	v_fmamk_f32 v28, v56, 0x3f5db3d7, v17
	v_fmac_f32_e32 v17, 0xbf5db3d7, v56
	v_mul_f32_e32 v54, -0.5, v29
	v_mul_f32_e32 v56, -0.5, v14
	;; [unrolled: 1-line block ×3, first 2 shown]
	v_fmamk_f32 v53, v31, 0xbf5db3d7, v15
	v_fmac_f32_e32 v15, 0x3f5db3d7, v31
	v_mul_f32_e32 v31, 0x3f5db3d7, v27
	v_fmac_f32_e32 v21, 0.5, v27
	v_fmac_f32_e32 v22, 0x3f5db3d7, v52
	v_fmac_f32_e32 v55, 0.5, v32
	v_fmac_f32_e32 v57, 0.5, v16
	v_fmac_f32_e32 v54, 0xbf5db3d7, v14
	v_fmac_f32_e32 v56, 0x3f5db3d7, v29
	;; [unrolled: 1-line block ×3, first 2 shown]
	v_fmac_f32_e32 v31, 0.5, v26
	global_store_dwordx2 v[19:20], v[11:12], off
	global_store_dwordx2 v[23:24], v[9:10], off offset:792
	global_store_dwordx2 v[19:20], v[7:8], off offset:816
	;; [unrolled: 1-line block ×3, first 2 shown]
	v_sub_f32_e32 v8, v18, v21
	v_sub_f32_e32 v4, v25, v22
	v_add_f32_e32 v12, v18, v21
	v_add_f32_e32 v9, v25, v22
	v_add_f32_e32 v22, v17, v55
	v_add_f32_e32 v21, v15, v57
	v_sub_f32_e32 v16, v17, v55
	v_add_f32_e32 v18, v28, v54
	v_add_f32_e32 v17, v53, v56
	v_sub_f32_e32 v15, v15, v57
	v_sub_f32_e32 v5, v50, v13
	v_add_f32_e32 v10, v50, v13
	v_sub_f32_e32 v14, v28, v54
	v_sub_f32_e32 v13, v53, v56
	v_add_f32_e32 v11, v30, v31
	v_sub_f32_e32 v7, v30, v31
	global_store_dwordx2 v[2:3], v[21:22], off offset:264
	global_store_dwordx2 v[70:71], v[17:18], off offset:528
	;; [unrolled: 1-line block ×8, first 2 shown]
	s_and_b32 exec_lo, exec_lo, s0
	s_cbranch_execz .LBB0_18
; %bb.17:
	v_mov_b32_e32 v4, 0xcc
	v_cndmask_b32_e64 v4, 0xffffffab, v4, s0
	v_add_nc_u32_e32 v0, v0, v4
	v_mul_i32_i24_e32 v0, 5, v0
	v_lshlrev_b64 v[0:1], 3, v[0:1]
	v_add_co_u32 v4, vcc_lo, s8, v0
	v_add_co_ci_u32_e32 v5, vcc_lo, s9, v1, vcc_lo
	v_add_co_u32 v0, vcc_lo, 0x800, v4
	v_add_co_ci_u32_e32 v1, vcc_lo, 0, v5, vcc_lo
	;; [unrolled: 2-line block ×3, first 2 shown]
	s_clause 0x2
	global_load_dwordx4 v[7:10], v[0:1], off offset:128
	global_load_dwordx4 v[11:14], v[4:5], off offset:16
	global_load_dwordx2 v[0:1], v[4:5], off offset:32
	s_waitcnt vmcnt(2)
	v_mul_f32_e32 v4, v48, v8
	v_mul_f32_e32 v8, v43, v8
	;; [unrolled: 1-line block ×4, first 2 shown]
	s_waitcnt vmcnt(1)
	v_mul_f32_e32 v15, v46, v12
	v_mul_f32_e32 v12, v41, v12
	s_waitcnt vmcnt(0)
	v_mul_f32_e32 v17, v49, v1
	v_mul_f32_e32 v1, v44, v1
	;; [unrolled: 1-line block ×4, first 2 shown]
	v_fma_f32 v18, v43, v7, -v4
	v_fmac_f32_e32 v8, v48, v7
	v_fma_f32 v4, v42, v9, -v5
	v_fmac_f32_e32 v10, v47, v9
	;; [unrolled: 2-line block ×5, first 2 shown]
	v_add_f32_e32 v22, v8, v12
	v_add_f32_e32 v17, v5, v9
	v_sub_f32_e32 v21, v12, v1
	v_add_f32_e32 v12, v12, v1
	v_add_f32_e32 v0, v39, v4
	;; [unrolled: 1-line block ×3, first 2 shown]
	v_sub_f32_e32 v13, v10, v14
	v_add_f32_e32 v15, v6, v10
	v_add_f32_e32 v10, v10, v14
	;; [unrolled: 1-line block ×3, first 2 shown]
	v_sub_f32_e32 v5, v5, v9
	v_fmac_f32_e32 v18, -0.5, v17
	v_fmac_f32_e32 v8, -0.5, v12
	v_sub_f32_e32 v4, v4, v7
	v_add_f32_e32 v7, v0, v7
	v_fmac_f32_e32 v39, -0.5, v11
	v_add_f32_e32 v11, v15, v14
	v_fmac_f32_e32 v6, -0.5, v10
	v_add_f32_e32 v9, v16, v9
	v_fmamk_f32 v14, v21, 0x3f5db3d7, v18
	v_fmamk_f32 v15, v5, 0xbf5db3d7, v8
	v_fmac_f32_e32 v18, 0xbf5db3d7, v21
	v_fmac_f32_e32 v8, 0x3f5db3d7, v5
	v_add_f32_e32 v10, v22, v1
	v_fmamk_f32 v12, v13, 0x3f5db3d7, v39
	v_fmac_f32_e32 v39, 0xbf5db3d7, v13
	v_fmamk_f32 v13, v4, 0xbf5db3d7, v6
	v_fmac_f32_e32 v6, 0x3f5db3d7, v4
	v_add_f32_e32 v0, v7, v9
	v_sub_f32_e32 v4, v7, v9
	v_mul_f32_e32 v9, 0x3f5db3d7, v15
	v_mul_f32_e32 v17, 0xbf5db3d7, v14
	v_mul_f32_e32 v16, -0.5, v18
	v_mul_f32_e32 v21, -0.5, v8
	v_add_f32_e32 v1, v11, v10
	v_fmac_f32_e32 v9, 0.5, v14
	v_fmac_f32_e32 v17, 0.5, v15
	v_fmac_f32_e32 v16, 0x3f5db3d7, v8
	v_fmac_f32_e32 v21, 0xbf5db3d7, v18
	v_sub_f32_e32 v5, v11, v10
	global_store_dwordx2 v[19:20], v[0:1], off offset:1632
	v_add_f32_e32 v0, v12, v9
	v_add_f32_e32 v1, v13, v17
	;; [unrolled: 1-line block ×4, first 2 shown]
	v_sub_f32_e32 v9, v12, v9
	v_sub_f32_e32 v10, v13, v17
	;; [unrolled: 1-line block ×4, first 2 shown]
	global_store_dwordx2 v[33:34], v[4:5], off offset:376
	global_store_dwordx2 v[2:3], v[0:1], off offset:1896
	;; [unrolled: 1-line block ×5, first 2 shown]
.LBB0_18:
	s_endpgm
	.section	.rodata,"a",@progbits
	.p2align	6, 0x0
	.amdhsa_kernel fft_rtc_fwd_len1734_factors_17_17_6_wgs_102_tpt_102_halfLds_sp_ip_CI_unitstride_sbrr_dirReg
		.amdhsa_group_segment_fixed_size 0
		.amdhsa_private_segment_fixed_size 0
		.amdhsa_kernarg_size 88
		.amdhsa_user_sgpr_count 6
		.amdhsa_user_sgpr_private_segment_buffer 1
		.amdhsa_user_sgpr_dispatch_ptr 0
		.amdhsa_user_sgpr_queue_ptr 0
		.amdhsa_user_sgpr_kernarg_segment_ptr 1
		.amdhsa_user_sgpr_dispatch_id 0
		.amdhsa_user_sgpr_flat_scratch_init 0
		.amdhsa_user_sgpr_private_segment_size 0
		.amdhsa_wavefront_size32 1
		.amdhsa_uses_dynamic_stack 0
		.amdhsa_system_sgpr_private_segment_wavefront_offset 0
		.amdhsa_system_sgpr_workgroup_id_x 1
		.amdhsa_system_sgpr_workgroup_id_y 0
		.amdhsa_system_sgpr_workgroup_id_z 0
		.amdhsa_system_sgpr_workgroup_info 0
		.amdhsa_system_vgpr_workitem_id 0
		.amdhsa_next_free_vgpr 82
		.amdhsa_next_free_sgpr 21
		.amdhsa_reserve_vcc 1
		.amdhsa_reserve_flat_scratch 0
		.amdhsa_float_round_mode_32 0
		.amdhsa_float_round_mode_16_64 0
		.amdhsa_float_denorm_mode_32 3
		.amdhsa_float_denorm_mode_16_64 3
		.amdhsa_dx10_clamp 1
		.amdhsa_ieee_mode 1
		.amdhsa_fp16_overflow 0
		.amdhsa_workgroup_processor_mode 1
		.amdhsa_memory_ordered 1
		.amdhsa_forward_progress 0
		.amdhsa_shared_vgpr_count 0
		.amdhsa_exception_fp_ieee_invalid_op 0
		.amdhsa_exception_fp_denorm_src 0
		.amdhsa_exception_fp_ieee_div_zero 0
		.amdhsa_exception_fp_ieee_overflow 0
		.amdhsa_exception_fp_ieee_underflow 0
		.amdhsa_exception_fp_ieee_inexact 0
		.amdhsa_exception_int_div_zero 0
	.end_amdhsa_kernel
	.text
.Lfunc_end0:
	.size	fft_rtc_fwd_len1734_factors_17_17_6_wgs_102_tpt_102_halfLds_sp_ip_CI_unitstride_sbrr_dirReg, .Lfunc_end0-fft_rtc_fwd_len1734_factors_17_17_6_wgs_102_tpt_102_halfLds_sp_ip_CI_unitstride_sbrr_dirReg
                                        ; -- End function
	.section	.AMDGPU.csdata,"",@progbits
; Kernel info:
; codeLenInByte = 14012
; NumSgprs: 23
; NumVgprs: 82
; ScratchSize: 0
; MemoryBound: 0
; FloatMode: 240
; IeeeMode: 1
; LDSByteSize: 0 bytes/workgroup (compile time only)
; SGPRBlocks: 2
; VGPRBlocks: 10
; NumSGPRsForWavesPerEU: 23
; NumVGPRsForWavesPerEU: 82
; Occupancy: 10
; WaveLimiterHint : 1
; COMPUTE_PGM_RSRC2:SCRATCH_EN: 0
; COMPUTE_PGM_RSRC2:USER_SGPR: 6
; COMPUTE_PGM_RSRC2:TRAP_HANDLER: 0
; COMPUTE_PGM_RSRC2:TGID_X_EN: 1
; COMPUTE_PGM_RSRC2:TGID_Y_EN: 0
; COMPUTE_PGM_RSRC2:TGID_Z_EN: 0
; COMPUTE_PGM_RSRC2:TIDIG_COMP_CNT: 0
	.text
	.p2alignl 6, 3214868480
	.fill 48, 4, 3214868480
	.type	__hip_cuid_b8ea91b5a2fcca30,@object ; @__hip_cuid_b8ea91b5a2fcca30
	.section	.bss,"aw",@nobits
	.globl	__hip_cuid_b8ea91b5a2fcca30
__hip_cuid_b8ea91b5a2fcca30:
	.byte	0                               ; 0x0
	.size	__hip_cuid_b8ea91b5a2fcca30, 1

	.ident	"AMD clang version 19.0.0git (https://github.com/RadeonOpenCompute/llvm-project roc-6.4.0 25133 c7fe45cf4b819c5991fe208aaa96edf142730f1d)"
	.section	".note.GNU-stack","",@progbits
	.addrsig
	.addrsig_sym __hip_cuid_b8ea91b5a2fcca30
	.amdgpu_metadata
---
amdhsa.kernels:
  - .args:
      - .actual_access:  read_only
        .address_space:  global
        .offset:         0
        .size:           8
        .value_kind:     global_buffer
      - .offset:         8
        .size:           8
        .value_kind:     by_value
      - .actual_access:  read_only
        .address_space:  global
        .offset:         16
        .size:           8
        .value_kind:     global_buffer
      - .actual_access:  read_only
        .address_space:  global
        .offset:         24
        .size:           8
        .value_kind:     global_buffer
      - .offset:         32
        .size:           8
        .value_kind:     by_value
      - .actual_access:  read_only
        .address_space:  global
        .offset:         40
        .size:           8
        .value_kind:     global_buffer
      - .actual_access:  read_only
        .address_space:  global
        .offset:         48
        .size:           8
        .value_kind:     global_buffer
      - .offset:         56
        .size:           4
        .value_kind:     by_value
      - .actual_access:  read_only
        .address_space:  global
        .offset:         64
        .size:           8
        .value_kind:     global_buffer
      - .actual_access:  read_only
        .address_space:  global
        .offset:         72
        .size:           8
        .value_kind:     global_buffer
      - .address_space:  global
        .offset:         80
        .size:           8
        .value_kind:     global_buffer
    .group_segment_fixed_size: 0
    .kernarg_segment_align: 8
    .kernarg_segment_size: 88
    .language:       OpenCL C
    .language_version:
      - 2
      - 0
    .max_flat_workgroup_size: 102
    .name:           fft_rtc_fwd_len1734_factors_17_17_6_wgs_102_tpt_102_halfLds_sp_ip_CI_unitstride_sbrr_dirReg
    .private_segment_fixed_size: 0
    .sgpr_count:     23
    .sgpr_spill_count: 0
    .symbol:         fft_rtc_fwd_len1734_factors_17_17_6_wgs_102_tpt_102_halfLds_sp_ip_CI_unitstride_sbrr_dirReg.kd
    .uniform_work_group_size: 1
    .uses_dynamic_stack: false
    .vgpr_count:     82
    .vgpr_spill_count: 0
    .wavefront_size: 32
    .workgroup_processor_mode: 1
amdhsa.target:   amdgcn-amd-amdhsa--gfx1030
amdhsa.version:
  - 1
  - 2
...

	.end_amdgpu_metadata
